;; amdgpu-corpus repo=ROCm/rocFFT kind=compiled arch=gfx1030 opt=O3
	.text
	.amdgcn_target "amdgcn-amd-amdhsa--gfx1030"
	.amdhsa_code_object_version 6
	.protected	fft_rtc_fwd_len1701_factors_3_3_3_3_3_7_wgs_63_tpt_63_halfLds_dp_op_CI_CI_unitstride_sbrr_dirReg ; -- Begin function fft_rtc_fwd_len1701_factors_3_3_3_3_3_7_wgs_63_tpt_63_halfLds_dp_op_CI_CI_unitstride_sbrr_dirReg
	.globl	fft_rtc_fwd_len1701_factors_3_3_3_3_3_7_wgs_63_tpt_63_halfLds_dp_op_CI_CI_unitstride_sbrr_dirReg
	.p2align	8
	.type	fft_rtc_fwd_len1701_factors_3_3_3_3_3_7_wgs_63_tpt_63_halfLds_dp_op_CI_CI_unitstride_sbrr_dirReg,@function
fft_rtc_fwd_len1701_factors_3_3_3_3_3_7_wgs_63_tpt_63_halfLds_dp_op_CI_CI_unitstride_sbrr_dirReg: ; @fft_rtc_fwd_len1701_factors_3_3_3_3_3_7_wgs_63_tpt_63_halfLds_dp_op_CI_CI_unitstride_sbrr_dirReg
; %bb.0:
	s_clause 0x2
	s_load_dwordx4 s[8:11], s[4:5], 0x0
	s_load_dwordx4 s[12:15], s[4:5], 0x58
	;; [unrolled: 1-line block ×3, first 2 shown]
	v_mul_u32_u24_e32 v2, 0x411, v0
	v_mov_b32_e32 v1, 0
	v_mov_b32_e32 v4, 0
	;; [unrolled: 1-line block ×3, first 2 shown]
	v_add_nc_u32_sdwa v6, s6, v2 dst_sel:DWORD dst_unused:UNUSED_PAD src0_sel:DWORD src1_sel:WORD_1
	v_mov_b32_e32 v7, v1
	s_waitcnt lgkmcnt(0)
	v_cmp_lt_u64_e64 s0, s[10:11], 2
	s_and_b32 vcc_lo, exec_lo, s0
	s_cbranch_vccnz .LBB0_8
; %bb.1:
	s_load_dwordx2 s[0:1], s[4:5], 0x10
	v_mov_b32_e32 v4, 0
	v_mov_b32_e32 v5, 0
	s_add_u32 s2, s18, 8
	s_addc_u32 s3, s19, 0
	s_add_u32 s6, s16, 8
	s_addc_u32 s7, s17, 0
	v_mov_b32_e32 v177, v5
	v_mov_b32_e32 v176, v4
	s_mov_b64 s[22:23], 1
	s_waitcnt lgkmcnt(0)
	s_add_u32 s20, s0, 8
	s_addc_u32 s21, s1, 0
.LBB0_2:                                ; =>This Inner Loop Header: Depth=1
	s_load_dwordx2 s[24:25], s[20:21], 0x0
                                        ; implicit-def: $vgpr178_vgpr179
	s_mov_b32 s0, exec_lo
	s_waitcnt lgkmcnt(0)
	v_or_b32_e32 v2, s25, v7
	v_cmpx_ne_u64_e32 0, v[1:2]
	s_xor_b32 s1, exec_lo, s0
	s_cbranch_execz .LBB0_4
; %bb.3:                                ;   in Loop: Header=BB0_2 Depth=1
	v_cvt_f32_u32_e32 v2, s24
	v_cvt_f32_u32_e32 v3, s25
	s_sub_u32 s0, 0, s24
	s_subb_u32 s26, 0, s25
	v_fmac_f32_e32 v2, 0x4f800000, v3
	v_rcp_f32_e32 v2, v2
	v_mul_f32_e32 v2, 0x5f7ffffc, v2
	v_mul_f32_e32 v3, 0x2f800000, v2
	v_trunc_f32_e32 v3, v3
	v_fmac_f32_e32 v2, 0xcf800000, v3
	v_cvt_u32_f32_e32 v3, v3
	v_cvt_u32_f32_e32 v2, v2
	v_mul_lo_u32 v8, s0, v3
	v_mul_hi_u32 v9, s0, v2
	v_mul_lo_u32 v10, s26, v2
	v_add_nc_u32_e32 v8, v9, v8
	v_mul_lo_u32 v9, s0, v2
	v_add_nc_u32_e32 v8, v8, v10
	v_mul_hi_u32 v10, v2, v9
	v_mul_lo_u32 v11, v2, v8
	v_mul_hi_u32 v12, v2, v8
	v_mul_hi_u32 v13, v3, v9
	v_mul_lo_u32 v9, v3, v9
	v_mul_hi_u32 v14, v3, v8
	v_mul_lo_u32 v8, v3, v8
	v_add_co_u32 v10, vcc_lo, v10, v11
	v_add_co_ci_u32_e32 v11, vcc_lo, 0, v12, vcc_lo
	v_add_co_u32 v9, vcc_lo, v10, v9
	v_add_co_ci_u32_e32 v9, vcc_lo, v11, v13, vcc_lo
	v_add_co_ci_u32_e32 v10, vcc_lo, 0, v14, vcc_lo
	v_add_co_u32 v8, vcc_lo, v9, v8
	v_add_co_ci_u32_e32 v9, vcc_lo, 0, v10, vcc_lo
	v_add_co_u32 v2, vcc_lo, v2, v8
	v_add_co_ci_u32_e32 v3, vcc_lo, v3, v9, vcc_lo
	v_mul_hi_u32 v8, s0, v2
	v_mul_lo_u32 v10, s26, v2
	v_mul_lo_u32 v9, s0, v3
	v_add_nc_u32_e32 v8, v8, v9
	v_mul_lo_u32 v9, s0, v2
	v_add_nc_u32_e32 v8, v8, v10
	v_mul_hi_u32 v10, v2, v9
	v_mul_lo_u32 v11, v2, v8
	v_mul_hi_u32 v12, v2, v8
	v_mul_hi_u32 v13, v3, v9
	v_mul_lo_u32 v9, v3, v9
	v_mul_hi_u32 v14, v3, v8
	v_mul_lo_u32 v8, v3, v8
	v_add_co_u32 v10, vcc_lo, v10, v11
	v_add_co_ci_u32_e32 v11, vcc_lo, 0, v12, vcc_lo
	v_add_co_u32 v9, vcc_lo, v10, v9
	v_add_co_ci_u32_e32 v9, vcc_lo, v11, v13, vcc_lo
	v_add_co_ci_u32_e32 v10, vcc_lo, 0, v14, vcc_lo
	v_add_co_u32 v8, vcc_lo, v9, v8
	v_add_co_ci_u32_e32 v9, vcc_lo, 0, v10, vcc_lo
	v_add_co_u32 v8, vcc_lo, v2, v8
	v_add_co_ci_u32_e32 v10, vcc_lo, v3, v9, vcc_lo
	v_mul_hi_u32 v12, v6, v8
	v_mad_u64_u32 v[8:9], null, v7, v8, 0
	v_mad_u64_u32 v[2:3], null, v6, v10, 0
	;; [unrolled: 1-line block ×3, first 2 shown]
	v_add_co_u32 v2, vcc_lo, v12, v2
	v_add_co_ci_u32_e32 v3, vcc_lo, 0, v3, vcc_lo
	v_add_co_u32 v2, vcc_lo, v2, v8
	v_add_co_ci_u32_e32 v2, vcc_lo, v3, v9, vcc_lo
	v_add_co_ci_u32_e32 v3, vcc_lo, 0, v11, vcc_lo
	v_add_co_u32 v8, vcc_lo, v2, v10
	v_add_co_ci_u32_e32 v9, vcc_lo, 0, v3, vcc_lo
	v_mul_lo_u32 v10, s25, v8
	v_mad_u64_u32 v[2:3], null, s24, v8, 0
	v_mul_lo_u32 v11, s24, v9
	v_sub_co_u32 v2, vcc_lo, v6, v2
	v_add3_u32 v3, v3, v11, v10
	v_sub_nc_u32_e32 v10, v7, v3
	v_subrev_co_ci_u32_e64 v10, s0, s25, v10, vcc_lo
	v_add_co_u32 v11, s0, v8, 2
	v_add_co_ci_u32_e64 v12, s0, 0, v9, s0
	v_sub_co_u32 v13, s0, v2, s24
	v_sub_co_ci_u32_e32 v3, vcc_lo, v7, v3, vcc_lo
	v_subrev_co_ci_u32_e64 v10, s0, 0, v10, s0
	v_cmp_le_u32_e32 vcc_lo, s24, v13
	v_cmp_eq_u32_e64 s0, s25, v3
	v_cndmask_b32_e64 v13, 0, -1, vcc_lo
	v_cmp_le_u32_e32 vcc_lo, s25, v10
	v_cndmask_b32_e64 v14, 0, -1, vcc_lo
	v_cmp_le_u32_e32 vcc_lo, s24, v2
	;; [unrolled: 2-line block ×3, first 2 shown]
	v_cndmask_b32_e64 v15, 0, -1, vcc_lo
	v_cmp_eq_u32_e32 vcc_lo, s25, v10
	v_cndmask_b32_e64 v2, v15, v2, s0
	v_cndmask_b32_e32 v10, v14, v13, vcc_lo
	v_add_co_u32 v13, vcc_lo, v8, 1
	v_add_co_ci_u32_e32 v14, vcc_lo, 0, v9, vcc_lo
	v_cmp_ne_u32_e32 vcc_lo, 0, v10
	v_cndmask_b32_e32 v3, v14, v12, vcc_lo
	v_cndmask_b32_e32 v10, v13, v11, vcc_lo
	v_cmp_ne_u32_e32 vcc_lo, 0, v2
	v_cndmask_b32_e32 v179, v9, v3, vcc_lo
	v_cndmask_b32_e32 v178, v8, v10, vcc_lo
.LBB0_4:                                ;   in Loop: Header=BB0_2 Depth=1
	s_andn2_saveexec_b32 s0, s1
	s_cbranch_execz .LBB0_6
; %bb.5:                                ;   in Loop: Header=BB0_2 Depth=1
	v_cvt_f32_u32_e32 v2, s24
	s_sub_i32 s1, 0, s24
	v_mov_b32_e32 v179, v1
	v_rcp_iflag_f32_e32 v2, v2
	v_mul_f32_e32 v2, 0x4f7ffffe, v2
	v_cvt_u32_f32_e32 v2, v2
	v_mul_lo_u32 v3, s1, v2
	v_mul_hi_u32 v3, v2, v3
	v_add_nc_u32_e32 v2, v2, v3
	v_mul_hi_u32 v2, v6, v2
	v_mul_lo_u32 v3, v2, s24
	v_add_nc_u32_e32 v8, 1, v2
	v_sub_nc_u32_e32 v3, v6, v3
	v_subrev_nc_u32_e32 v9, s24, v3
	v_cmp_le_u32_e32 vcc_lo, s24, v3
	v_cndmask_b32_e32 v3, v3, v9, vcc_lo
	v_cndmask_b32_e32 v2, v2, v8, vcc_lo
	v_cmp_le_u32_e32 vcc_lo, s24, v3
	v_add_nc_u32_e32 v8, 1, v2
	v_cndmask_b32_e32 v178, v2, v8, vcc_lo
.LBB0_6:                                ;   in Loop: Header=BB0_2 Depth=1
	s_or_b32 exec_lo, exec_lo, s0
	v_mul_lo_u32 v8, v179, s24
	v_mul_lo_u32 v9, v178, s25
	s_load_dwordx2 s[0:1], s[6:7], 0x0
	v_mad_u64_u32 v[2:3], null, v178, s24, 0
	s_load_dwordx2 s[24:25], s[2:3], 0x0
	s_add_u32 s22, s22, 1
	s_addc_u32 s23, s23, 0
	s_add_u32 s2, s2, 8
	s_addc_u32 s3, s3, 0
	s_add_u32 s6, s6, 8
	v_add3_u32 v3, v3, v9, v8
	v_sub_co_u32 v2, vcc_lo, v6, v2
	s_addc_u32 s7, s7, 0
	s_add_u32 s20, s20, 8
	v_sub_co_ci_u32_e32 v3, vcc_lo, v7, v3, vcc_lo
	s_addc_u32 s21, s21, 0
	s_waitcnt lgkmcnt(0)
	v_mul_lo_u32 v6, s0, v3
	v_mul_lo_u32 v7, s1, v2
	v_mad_u64_u32 v[4:5], null, s0, v2, v[4:5]
	v_mul_lo_u32 v3, s24, v3
	v_mul_lo_u32 v8, s25, v2
	v_mad_u64_u32 v[176:177], null, s24, v2, v[176:177]
	v_cmp_ge_u64_e64 s0, s[22:23], s[10:11]
	v_add3_u32 v5, v7, v5, v6
	v_add3_u32 v177, v8, v177, v3
	s_and_b32 vcc_lo, exec_lo, s0
	s_cbranch_vccnz .LBB0_9
; %bb.7:                                ;   in Loop: Header=BB0_2 Depth=1
	v_mov_b32_e32 v6, v178
	v_mov_b32_e32 v7, v179
	s_branch .LBB0_2
.LBB0_8:
	v_mov_b32_e32 v177, v5
	v_mov_b32_e32 v179, v7
	;; [unrolled: 1-line block ×4, first 2 shown]
.LBB0_9:
	s_load_dwordx2 s[0:1], s[4:5], 0x28
	v_mul_hi_u32 v1, 0x4104105, v0
	s_lshl_b64 s[4:5], s[10:11], 3
                                        ; implicit-def: $vgpr220
	s_add_u32 s2, s18, s4
	s_addc_u32 s3, s19, s5
	s_waitcnt lgkmcnt(0)
	v_cmp_gt_u64_e32 vcc_lo, s[0:1], v[178:179]
	v_cmp_le_u64_e64 s0, s[0:1], v[178:179]
	s_and_saveexec_b32 s1, s0
	s_xor_b32 s0, exec_lo, s1
; %bb.10:
	v_mul_u32_u24_e32 v1, 63, v1
                                        ; implicit-def: $vgpr4_vgpr5
	v_sub_nc_u32_e32 v220, v0, v1
                                        ; implicit-def: $vgpr1
                                        ; implicit-def: $vgpr0
; %bb.11:
	s_or_saveexec_b32 s1, s0
                                        ; implicit-def: $vgpr46_vgpr47
                                        ; implicit-def: $vgpr34_vgpr35
                                        ; implicit-def: $vgpr42_vgpr43
                                        ; implicit-def: $vgpr58_vgpr59
                                        ; implicit-def: $vgpr18_vgpr19
                                        ; implicit-def: $vgpr14_vgpr15
                                        ; implicit-def: $vgpr26_vgpr27
                                        ; implicit-def: $vgpr30_vgpr31
                                        ; implicit-def: $vgpr22_vgpr23
                                        ; implicit-def: $vgpr50_vgpr51
                                        ; implicit-def: $vgpr62_vgpr63
                                        ; implicit-def: $vgpr38_vgpr39
                                        ; implicit-def: $vgpr70_vgpr71
                                        ; implicit-def: $vgpr74_vgpr75
                                        ; implicit-def: $vgpr66_vgpr67
                                        ; implicit-def: $vgpr86_vgpr87
                                        ; implicit-def: $vgpr54_vgpr55
                                        ; implicit-def: $vgpr10_vgpr11
                                        ; implicit-def: $vgpr78_vgpr79
                                        ; implicit-def: $vgpr82_vgpr83
                                        ; implicit-def: $vgpr90_vgpr91
                                        ; implicit-def: $vgpr94_vgpr95
                                        ; implicit-def: $vgpr102_vgpr103
                                        ; implicit-def: $vgpr6_vgpr7
                                        ; implicit-def: $vgpr98_vgpr99
                                        ; implicit-def: $vgpr106_vgpr107
                                        ; implicit-def: $vgpr2_vgpr3
	s_xor_b32 exec_lo, exec_lo, s1
	s_cbranch_execz .LBB0_13
; %bb.12:
	s_add_u32 s4, s16, s4
	s_addc_u32 s5, s17, s5
	s_load_dwordx2 s[4:5], s[4:5], 0x0
	s_waitcnt lgkmcnt(0)
	v_mul_lo_u32 v6, s5, v178
	v_mul_lo_u32 v7, s4, v179
	v_mad_u64_u32 v[2:3], null, s4, v178, 0
	v_add3_u32 v3, v3, v7, v6
	v_mul_u32_u24_e32 v6, 63, v1
	v_lshlrev_b64 v[1:2], 4, v[2:3]
	v_lshlrev_b64 v[3:4], 4, v[4:5]
	v_sub_nc_u32_e32 v220, v0, v6
	v_add_co_u32 v0, s0, s12, v1
	v_add_co_ci_u32_e64 v1, s0, s13, v2, s0
	v_lshlrev_b32_e32 v2, 4, v220
	v_add_co_u32 v0, s0, v0, v3
	v_add_co_ci_u32_e64 v1, s0, v1, v4, s0
	v_add_co_u32 v32, s0, v0, v2
	v_add_co_ci_u32_e64 v33, s0, 0, v1, s0
	s_clause 0x1
	global_load_dwordx4 v[0:3], v[32:33], off
	global_load_dwordx4 v[4:7], v[32:33], off offset:1008
	v_add_co_u32 v34, s0, 0x2000, v32
	v_add_co_ci_u32_e64 v35, s0, 0, v33, s0
	v_add_co_u32 v40, s0, 0x4000, v32
	v_add_co_ci_u32_e64 v41, s0, 0, v33, s0
	;; [unrolled: 2-line block ×8, first 2 shown]
	s_clause 0x3
	global_load_dwordx4 v[80:83], v[12:13], off offset:848
	global_load_dwordx4 v[76:79], v[42:43], off offset:1728
	;; [unrolled: 1-line block ×4, first 2 shown]
	v_add_co_u32 v12, s0, 0x5800, v32
	v_add_co_ci_u32_e64 v13, s0, 0, v33, s0
	v_add_co_u32 v44, s0, 0x3800, v32
	v_add_co_ci_u32_e64 v45, s0, 0, v33, s0
	;; [unrolled: 2-line block ×4, first 2 shown]
	s_clause 0x14
	global_load_dwordx4 v[84:87], v[16:17], off offset:688
	global_load_dwordx4 v[64:67], v[14:15], off offset:1984
	;; [unrolled: 1-line block ×21, first 2 shown]
.LBB0_13:
	s_or_b32 exec_lo, exec_lo, s1
	s_waitcnt vmcnt(5)
	v_add_f64 v[108:109], v[96:97], v[104:105]
	s_waitcnt vmcnt(4)
	v_add_f64 v[116:117], v[92:93], v[100:101]
	v_add_f64 v[122:123], v[76:77], v[80:81]
	v_add_f64 v[134:135], v[68:69], v[72:73]
	v_add_f64 v[110:111], v[104:105], v[0:1]
	v_add_f64 v[112:113], v[106:107], v[2:3]
	v_add_f64 v[114:115], v[98:99], v[106:107]
	v_add_f64 v[128:129], v[84:85], v[52:53]
	v_add_f64 v[118:119], v[100:101], v[4:5]
	v_add_f64 v[120:121], v[102:103], v[6:7]
	v_add_f64 v[126:127], v[80:81], v[88:89]
	v_add_f64 v[138:139], v[54:55], v[10:11]
	v_add_f64 v[106:107], v[106:107], -v[98:99]
	v_add_f64 v[104:105], v[104:105], -v[96:97]
	v_add_f64 v[124:125], v[94:95], v[102:103]
	v_add_f64 v[102:103], v[102:103], -v[94:95]
	v_add_f64 v[130:131], v[82:83], v[90:91]
	v_add_f64 v[132:133], v[78:79], v[82:83]
	v_add_f64 v[82:83], v[82:83], -v[78:79]
	v_add_f64 v[136:137], v[52:53], v[8:9]
	s_mov_b32 s4, 0xe8584caa
	s_mov_b32 s5, 0x3febb67a
	v_fma_f64 v[0:1], v[108:109], -0.5, v[0:1]
	v_add_f64 v[108:109], v[54:55], -v[86:87]
	v_fma_f64 v[4:5], v[116:117], -0.5, v[4:5]
	v_add_f64 v[54:55], v[86:87], v[54:55]
	v_add_f64 v[116:117], v[74:75], -v[70:71]
	v_fma_f64 v[88:89], v[122:123], -0.5, v[88:89]
	v_add_f64 v[122:123], v[72:73], v[64:65]
	v_fma_f64 v[64:65], v[134:135], -0.5, v[64:65]
	v_add_f64 v[96:97], v[96:97], v[110:111]
	v_add_f64 v[98:99], v[98:99], v[112:113]
	v_fma_f64 v[110:111], v[114:115], -0.5, v[2:3]
	v_fma_f64 v[2:3], v[128:129], -0.5, v[8:9]
	v_add_f64 v[112:113], v[74:75], v[66:67]
	v_add_f64 v[114:115], v[48:49], v[60:61]
	;; [unrolled: 1-line block ×4, first 2 shown]
	s_mov_b32 s7, 0xbfebb67a
	s_mov_b32 s6, s4
	v_add_f64 v[100:101], v[100:101], -v[92:93]
	v_add_f64 v[92:93], v[94:95], v[120:121]
	s_waitcnt vmcnt(1)
	v_add_f64 v[120:121], v[56:57], v[16:17]
	v_add_f64 v[74:75], v[70:71], v[74:75]
	v_add_f64 v[80:81], v[80:81], -v[76:77]
	v_fma_f64 v[94:95], v[124:125], -0.5, v[6:7]
	v_add_f64 v[6:7], v[76:77], v[126:127]
	v_fma_f64 v[54:55], v[54:55], -0.5, v[10:11]
	v_add_f64 v[76:77], v[78:79], v[130:131]
	v_fma_f64 v[78:79], v[132:133], -0.5, v[90:91]
	v_fma_f64 v[90:91], v[106:107], s[4:5], v[0:1]
	v_fma_f64 v[10:11], v[116:117], s[4:5], v[64:65]
	;; [unrolled: 1-line block ×3, first 2 shown]
	v_add_f64 v[116:117], v[68:69], v[122:123]
	v_add_f64 v[122:123], v[60:61], v[36:37]
	v_fma_f64 v[0:1], v[106:107], s[6:7], v[0:1]
	v_fma_f64 v[106:107], v[102:103], s[4:5], v[4:5]
	;; [unrolled: 1-line block ×7, first 2 shown]
	s_waitcnt vmcnt(0)
	v_add_f64 v[108:109], v[44:45], v[32:33]
	v_add_f64 v[124:125], v[62:63], v[38:39]
	;; [unrolled: 1-line block ×3, first 2 shown]
	v_fma_f64 v[36:37], v[114:115], -0.5, v[36:37]
	v_add_f64 v[112:113], v[62:63], -v[50:51]
	v_fma_f64 v[114:115], v[118:119], -0.5, v[20:21]
	v_add_f64 v[20:21], v[28:29], v[20:21]
	v_add_f64 v[62:63], v[50:51], v[62:63]
	v_add_f64 v[118:119], v[30:31], -v[26:27]
	v_add_f64 v[52:53], v[52:53], -v[84:85]
	v_add_f64 v[84:85], v[84:85], v[136:137]
	v_add_f64 v[68:69], v[72:73], -v[68:69]
	v_add_f64 v[72:73], v[30:31], v[22:23]
	v_add_f64 v[30:31], v[26:27], v[30:31]
	v_fma_f64 v[120:121], v[120:121], -0.5, v[12:13]
	v_add_f64 v[126:127], v[18:19], -v[58:59]
	v_fma_f64 v[66:67], v[74:75], -0.5, v[66:67]
	v_add_f64 v[74:75], v[60:61], -v[48:49]
	v_add_f64 v[12:13], v[16:17], v[12:13]
	v_add_f64 v[60:61], v[18:19], v[14:15]
	;; [unrolled: 1-line block ×5, first 2 shown]
	v_fma_f64 v[40:41], v[108:109], -0.5, v[40:41]
	v_add_f64 v[108:109], v[34:35], -v[46:47]
	v_add_f64 v[122:123], v[50:51], v[124:125]
	v_fma_f64 v[124:125], v[112:113], s[4:5], v[36:37]
	v_fma_f64 v[36:37], v[112:113], s[6:7], v[36:37]
	v_add_f64 v[50:51], v[34:35], v[42:43]
	v_add_f64 v[34:35], v[46:47], v[34:35]
	v_mad_u32_u24 v133, v220, 24, 0
	s_load_dwordx2 s[2:3], s[2:3], 0x0
	ds_write2_b64 v133, v[96:97], v[90:91] offset1:1
	ds_write2_b64 v133, v[8:9], v[106:107] offset0:189 offset1:190
	v_add_nc_u32_e32 v106, 0x11b8, v133
	v_add_nc_u32_e32 v107, 0xa00, v133
	;; [unrolled: 1-line block ×3, first 2 shown]
	v_add_f64 v[20:21], v[24:25], v[20:21]
	v_add_nc_u32_e32 v134, 0xbd0, v133
	v_add_nc_u32_e32 v135, 0x17a0, v133
	;; [unrolled: 1-line block ×3, first 2 shown]
	v_fma_f64 v[62:63], v[62:63], -0.5, v[38:39]
	v_fma_f64 v[38:39], v[118:119], s[4:5], v[114:115]
	v_fma_f64 v[112:113], v[118:119], s[6:7], v[114:115]
	v_add_f64 v[114:115], v[28:29], -v[24:25]
	v_fma_f64 v[118:119], v[30:31], -0.5, v[22:23]
	v_fma_f64 v[22:23], v[126:127], s[4:5], v[120:121]
	v_fma_f64 v[24:25], v[126:127], s[6:7], v[120:121]
	v_add_f64 v[120:121], v[16:17], -v[56:57]
	v_add_f64 v[12:13], v[56:57], v[12:13]
	v_add_f64 v[56:57], v[58:59], v[60:61]
	v_fma_f64 v[58:59], v[18:19], -0.5, v[14:15]
	v_add_f64 v[14:15], v[44:45], v[128:129]
	ds_write2_b64 v133, v[0:1], v[4:5] offset0:2 offset1:191
	ds_write2_b64 v134, v[6:7], v[102:103] offset1:1
	ds_write2_b64 v106, v[84:85], v[88:89] offset1:1
	ds_write2_b64 v107, v[82:83], v[2:3] offset0:60 offset1:249
	ds_write2_b64 v135, v[116:117], v[10:11] offset1:1
	ds_write2_b64 v136, v[64:65], v[48:49] offset0:54 offset1:241
	ds_write2_b64 v137, v[124:125], v[36:37] offset1:1
	v_fma_f64 v[64:65], v[104:105], s[6:7], v[110:111]
	v_fma_f64 v[16:17], v[108:109], s[4:5], v[40:41]
	;; [unrolled: 1-line block ×3, first 2 shown]
	v_fma_f64 v[126:127], v[34:35], -0.5, v[42:43]
	v_add_f64 v[131:132], v[32:33], -v[44:45]
	v_add_f64 v[86:87], v[86:87], v[138:139]
	v_lshl_add_u32 v147, v220, 3, 0
	v_fma_f64 v[82:83], v[100:101], s[6:7], v[94:95]
	v_fma_f64 v[90:91], v[80:81], s[6:7], v[78:79]
	;; [unrolled: 1-line block ×7, first 2 shown]
	v_add_nc_u32_e32 v116, 0x2378, v133
	v_fma_f64 v[54:55], v[68:69], s[6:7], v[66:67]
	v_fma_f64 v[68:69], v[68:69], s[4:5], v[66:67]
	v_add_nc_u32_e32 v150, 0x1000, v147
	v_add_nc_u32_e32 v129, 0x1400, v147
	;; [unrolled: 1-line block ×5, first 2 shown]
	ds_write_b64 v133, v[20:21] offset:9072
	ds_write2_b64 v116, v[38:39], v[112:113] offset1:1
	v_add_nc_u32_e32 v112, 0x2f48, v133
	v_add_nc_u32_e32 v149, 0xc00, v147
	;; [unrolled: 1-line block ×6, first 2 shown]
	v_fma_f64 v[94:95], v[74:75], s[6:7], v[62:63]
	v_fma_f64 v[74:75], v[74:75], s[4:5], v[62:63]
	v_and_b32_e32 v62, 0xff, v220
	v_add_nc_u32_e32 v130, 0x2c00, v147
	v_add_nc_u32_e32 v155, 0x1c00, v147
	v_add_f64 v[72:73], v[26:27], v[72:73]
	v_add_f64 v[108:109], v[46:47], v[50:51]
	ds_write_b64 v133, v[12:13] offset:10584
	ds_write2_b64 v117, v[22:23], v[24:25] offset1:1
	ds_write_b64 v133, v[14:15] offset:12096
	ds_write2_b64 v112, v[16:17], v[18:19] offset1:1
	s_waitcnt lgkmcnt(0)
	s_barrier
	buffer_gl0_inv
	ds_read2_b64 v[4:7], v147 offset1:63
	ds_read2_b64 v[0:3], v149 offset0:120 offset1:183
	ds_read2_b64 v[48:51], v148 offset0:110 offset1:173
	;; [unrolled: 1-line block ×10, first 2 shown]
	ds_read_b64 v[60:61], v147 offset:13104
	ds_read2_b64 v[40:43], v130 offset0:104 offset1:167
	ds_read2_b64 v[32:35], v155 offset0:112 offset1:175
	s_waitcnt lgkmcnt(0)
	s_barrier
	buffer_gl0_inv
	ds_write2_b64 v133, v[98:99], v[64:65] offset1:1
	v_fma_f64 v[65:66], v[120:121], s[6:7], v[58:59]
	v_fma_f64 v[58:59], v[120:121], s[4:5], v[58:59]
	;; [unrolled: 1-line block ×6, first 2 shown]
	v_mul_lo_u16 v63, 0xab, v62
	v_add_nc_u32_e32 v126, 63, v220
	ds_write2_b64 v133, v[92:93], v[82:83] offset0:189 offset1:190
	ds_write2_b64 v133, v[84:85], v[88:89] offset0:2 offset1:191
	ds_write2_b64 v134, v[76:77], v[90:91] offset1:1
	ds_write2_b64 v106, v[86:87], v[80:81] offset1:1
	ds_write2_b64 v107, v[78:79], v[52:53] offset0:60 offset1:249
	ds_write2_b64 v135, v[70:71], v[54:55] offset1:1
	ds_write2_b64 v136, v[68:69], v[122:123] offset0:54 offset1:241
	v_lshrrev_b16 v67, 9, v63
	v_add_nc_u32_e32 v146, 0x7e, v220
	v_and_b32_e32 v63, 0xff, v126
	ds_write2_b64 v137, v[94:95], v[74:75] offset1:1
	ds_write_b64 v133, v[72:73] offset:9072
	ds_write2_b64 v116, v[96:97], v[100:101] offset1:1
	v_mul_lo_u16 v52, v67, 3
	v_and_b32_e32 v127, 0xff, v146
	ds_write_b64 v133, v[56:57] offset:10584
	ds_write2_b64 v117, v[65:66], v[58:59] offset1:1
	ds_write_b64 v133, v[108:109] offset:12096
	ds_write2_b64 v112, v[98:99], v[102:103] offset1:1
	v_add_nc_u32_e32 v221, 0xbd, v220
	v_sub_nc_u16 v64, v220, v52
	v_mul_lo_u16 v52, 0xab, v63
	v_mul_lo_u16 v53, 0xab, v127
	v_mov_b32_e32 v131, 5
	v_and_b32_e32 v138, 0xff, v221
	v_add_nc_u32_e32 v132, 0xfc, v220
	v_lshrrev_b16 v65, 9, v52
	v_lshrrev_b16 v66, 9, v53
	v_mov_b32_e32 v99, 0xaaab
	v_add_nc_u32_e32 v133, 0x13b, v220
	v_add_nc_u32_e32 v134, 0x17a, v220
	v_mul_lo_u16 v56, v65, 3
	v_mul_lo_u16 v57, v66, 3
	v_lshlrev_b32_sdwa v70, v131, v64 dst_sel:DWORD dst_unused:UNUSED_PAD src0_sel:DWORD src1_sel:BYTE_0
	v_mul_lo_u16 v58, 0xab, v138
	v_mul_u32_u24_sdwa v76, v133, v99 dst_sel:DWORD dst_unused:UNUSED_PAD src0_sel:WORD_0 src1_sel:DWORD
	v_sub_nc_u16 v69, v126, v56
	v_sub_nc_u16 v68, v146, v57
	v_mul_u32_u24_sdwa v56, v132, v99 dst_sel:DWORD dst_unused:UNUSED_PAD src0_sel:WORD_0 src1_sel:DWORD
	v_mul_u32_u24_sdwa v91, v134, v99 dst_sel:DWORD dst_unused:UNUSED_PAD src0_sel:WORD_0 src1_sel:DWORD
	s_waitcnt lgkmcnt(0)
	v_lshlrev_b32_sdwa v57, v131, v69 dst_sel:DWORD dst_unused:UNUSED_PAD src0_sel:DWORD src1_sel:BYTE_0
	s_barrier
	buffer_gl0_inv
	global_load_dwordx4 v[52:55], v70, s[8:9] offset:16
	v_lshrrev_b16 v123, 9, v58
	v_lshrrev_b32_e32 v124, 17, v56
	s_clause 0x1
	global_load_dwordx4 v[71:74], v57, s[8:9] offset:16
	global_load_dwordx4 v[56:59], v57, s[8:9]
	v_lshrrev_b32_e32 v143, 17, v76
	v_add_nc_u32_e32 v135, 0x1b9, v220
	v_lshrrev_b32_e32 v145, 17, v91
	v_mul_lo_u16 v75, v123, 3
	v_mul_lo_u16 v83, v124, 3
	v_mul_lo_u16 v92, v143, 3
	v_mul_u32_u24_sdwa v100, v135, v99 dst_sel:DWORD dst_unused:UNUSED_PAD src0_sel:WORD_0 src1_sel:DWORD
	v_mul_lo_u16 v101, v145, 3
	v_sub_nc_u16 v125, v221, v75
	v_sub_nc_u16 v144, v132, v83
	;; [unrolled: 1-line block ×3, first 2 shown]
	v_add_nc_u32_e32 v137, 0x1f8, v220
	v_lshrrev_b32_e32 v165, 17, v100
	v_sub_nc_u16 v166, v134, v101
	v_lshlrev_b32_sdwa v79, v131, v68 dst_sel:DWORD dst_unused:UNUSED_PAD src0_sel:DWORD src1_sel:BYTE_0
	v_lshlrev_b32_sdwa v87, v131, v125 dst_sel:DWORD dst_unused:UNUSED_PAD src0_sel:DWORD src1_sel:BYTE_0
	v_lshlrev_b32_sdwa v95, v131, v144 dst_sel:DWORD dst_unused:UNUSED_PAD src0_sel:DWORD src1_sel:WORD_0
	v_mul_u32_u24_sdwa v99, v137, v99 dst_sel:DWORD dst_unused:UNUSED_PAD src0_sel:WORD_0 src1_sel:DWORD
	v_lshlrev_b32_sdwa v103, v131, v164 dst_sel:DWORD dst_unused:UNUSED_PAD src0_sel:DWORD src1_sel:WORD_0
	v_mul_lo_u16 v107, v165, 3
	v_lshlrev_b32_sdwa v115, v131, v166 dst_sel:DWORD dst_unused:UNUSED_PAD src0_sel:DWORD src1_sel:WORD_0
	s_clause 0x5
	global_load_dwordx4 v[75:78], v79, s[8:9]
	global_load_dwordx4 v[79:82], v79, s[8:9] offset:16
	global_load_dwordx4 v[83:86], v87, s[8:9] offset:16
	global_load_dwordx4 v[87:90], v87, s[8:9]
	global_load_dwordx4 v[91:94], v95, s[8:9]
	global_load_dwordx4 v[95:98], v95, s[8:9] offset:16
	v_lshrrev_b32_e32 v167, 17, v99
	s_clause 0x1
	global_load_dwordx4 v[99:102], v103, s[8:9] offset:16
	global_load_dwordx4 v[103:106], v103, s[8:9]
	v_sub_nc_u16 v168, v135, v107
	s_clause 0x1
	global_load_dwordx4 v[107:110], v115, s[8:9]
	global_load_dwordx4 v[111:114], v70, s[8:9]
	v_mul_lo_u16 v116, v167, 3
	v_mov_b32_e32 v169, 0x48
	v_mul_u32_u24_e32 v232, 0x48, v165
	v_lshlrev_b32_sdwa v136, v131, v168 dst_sel:DWORD dst_unused:UNUSED_PAD src0_sel:DWORD src1_sel:WORD_0
	v_mul_u32_u24_e32 v233, 0x48, v167
	v_sub_nc_u16 v70, v137, v116
	global_load_dwordx4 v[115:118], v115, s[8:9] offset:16
	v_mul_u32_u24_sdwa v67, v67, v169 dst_sel:DWORD dst_unused:UNUSED_PAD src0_sel:WORD_0 src1_sel:DWORD
	v_mul_u32_u24_sdwa v165, v65, v169 dst_sel:DWORD dst_unused:UNUSED_PAD src0_sel:WORD_0 src1_sel:DWORD
	;; [unrolled: 1-line block ×3, first 2 shown]
	v_lshlrev_b32_sdwa v160, v131, v70 dst_sel:DWORD dst_unused:UNUSED_PAD src0_sel:DWORD src1_sel:WORD_0
	s_clause 0x3
	global_load_dwordx4 v[119:122], v136, s[8:9] offset:16
	global_load_dwordx4 v[139:142], v136, s[8:9]
	global_load_dwordx4 v[156:159], v160, s[8:9]
	global_load_dwordx4 v[160:163], v160, s[8:9] offset:16
	v_mov_b32_e32 v136, 3
	v_mul_u32_u24_e32 v124, 0x48, v124
	v_mul_u32_u24_e32 v143, 0x48, v143
	v_mul_u32_u24_sdwa v123, v123, v169 dst_sel:DWORD dst_unused:UNUSED_PAD src0_sel:WORD_0 src1_sel:DWORD
	v_mul_u32_u24_e32 v145, 0x48, v145
	v_lshlrev_b32_sdwa v64, v136, v64 dst_sel:DWORD dst_unused:UNUSED_PAD src0_sel:DWORD src1_sel:BYTE_0
	v_lshlrev_b32_sdwa v144, v136, v144 dst_sel:DWORD dst_unused:UNUSED_PAD src0_sel:DWORD src1_sel:WORD_0
	v_lshlrev_b32_sdwa v164, v136, v164 dst_sel:DWORD dst_unused:UNUSED_PAD src0_sel:DWORD src1_sel:WORD_0
	v_lshlrev_b32_sdwa v125, v136, v125 dst_sel:DWORD dst_unused:UNUSED_PAD src0_sel:DWORD src1_sel:BYTE_0
	v_lshlrev_b32_sdwa v166, v136, v166 dst_sel:DWORD dst_unused:UNUSED_PAD src0_sel:DWORD src1_sel:WORD_0
	v_add3_u32 v235, 0, v67, v64
	ds_read2_b64 v[64:67], v148 offset0:110 offset1:173
	v_lshlrev_b32_sdwa v69, v136, v69 dst_sel:DWORD dst_unused:UNUSED_PAD src0_sel:DWORD src1_sel:BYTE_0
	v_lshlrev_b32_sdwa v68, v136, v68 dst_sel:DWORD dst_unused:UNUSED_PAD src0_sel:DWORD src1_sel:BYTE_0
	v_add3_u32 v236, 0, v124, v144
	v_add3_u32 v237, 0, v143, v164
	;; [unrolled: 1-line block ×3, first 2 shown]
	v_lshlrev_b32_sdwa v234, v136, v168 dst_sel:DWORD dst_unused:UNUSED_PAD src0_sel:DWORD src1_sel:WORD_0
	v_add3_u32 v145, 0, v145, v166
	v_add3_u32 v238, 0, v165, v69
	;; [unrolled: 1-line block ×3, first 2 shown]
	ds_read2_b64 v[164:167], v150 offset0:118 offset1:181
	ds_read2_b64 v[168:171], v151 offset0:108 offset1:171
	;; [unrolled: 1-line block ×7, first 2 shown]
	ds_read_b64 v[68:69], v147 offset:13104
	ds_read2_b64 v[196:199], v149 offset0:120 offset1:183
	ds_read2_b64 v[200:203], v147 offset1:63
	ds_read2_b64 v[204:207], v147 offset0:126 offset1:189
	ds_read2_b64 v[208:211], v128 offset0:124 offset1:187
	ds_read2_b64 v[212:215], v154 offset0:122 offset1:185
	s_waitcnt vmcnt(0) lgkmcnt(0)
	s_barrier
	buffer_gl0_inv
	v_cmp_gt_u32_e64 s0, 18, v220
	v_mul_f64 v[123:124], v[64:65], v[54:55]
	v_mul_f64 v[54:55], v[48:49], v[54:55]
	;; [unrolled: 1-line block ×6, first 2 shown]
	v_fma_f64 v[48:49], v[48:49], v[52:53], -v[123:124]
	v_fma_f64 v[52:53], v[64:65], v[52:53], v[54:55]
	v_fma_f64 v[50:51], v[50:51], v[71:72], -v[143:144]
	v_fma_f64 v[66:67], v[66:67], v[71:72], v[73:74]
	v_mul_f64 v[218:219], v[166:167], v[77:78]
	v_mul_f64 v[230:231], v[180:181], v[97:98]
	;; [unrolled: 1-line block ×17, first 2 shown]
	v_fma_f64 v[36:37], v[36:37], v[56:57], -v[216:217]
	v_fma_f64 v[56:57], v[164:165], v[56:57], v[58:59]
	v_mul_f64 v[58:59], v[46:47], v[109:110]
	v_mul_f64 v[109:110], v[188:189], v[117:118]
	;; [unrolled: 1-line block ×6, first 2 shown]
	v_fma_f64 v[38:39], v[38:39], v[75:76], -v[218:219]
	v_fma_f64 v[54:55], v[180:181], v[95:96], v[54:55]
	v_fma_f64 v[64:65], v[26:27], v[99:100], -v[64:65]
	v_mul_f64 v[117:118], v[40:41], v[117:118]
	v_fma_f64 v[2:3], v[2:3], v[111:112], -v[105:106]
	v_fma_f64 v[164:165], v[28:29], v[79:80], -v[222:223]
	v_mul_f64 v[28:29], v[34:35], v[158:159]
	v_fma_f64 v[158:159], v[30:31], v[83:84], -v[224:225]
	v_fma_f64 v[83:84], v[170:171], v[83:84], v[85:86]
	v_fma_f64 v[85:86], v[20:21], v[87:88], -v[226:227]
	v_fma_f64 v[20:21], v[172:173], v[87:88], v[89:90]
	;; [unrolled: 2-line block ×4, first 2 shown]
	v_mul_f64 v[77:78], v[42:43], v[121:122]
	v_mul_f64 v[121:122], v[192:193], v[141:142]
	;; [unrolled: 1-line block ×3, first 2 shown]
	v_fma_f64 v[95:96], v[44:45], v[103:104], -v[101:102]
	v_fma_f64 v[24:25], v[184:185], v[103:104], v[71:72]
	v_fma_f64 v[71:72], v[46:47], v[107:108], -v[73:74]
	v_fma_f64 v[26:27], v[186:187], v[107:108], v[58:59]
	;; [unrolled: 2-line block ×3, first 2 shown]
	v_mul_f64 v[81:82], v[68:69], v[162:163]
	v_mul_f64 v[30:31], v[60:61], v[162:163]
	v_fma_f64 v[22:23], v[198:199], v[111:112], v[113:114]
	v_fma_f64 v[101:102], v[34:35], v[156:157], -v[143:144]
	v_add_f64 v[34:35], v[2:3], v[48:49]
	v_fma_f64 v[93:94], v[182:183], v[99:100], v[97:98]
	v_fma_f64 v[97:98], v[42:43], v[119:120], -v[123:124]
	v_add_f64 v[42:43], v[36:37], v[50:51]
	v_add_f64 v[107:108], v[38:39], v[164:165]
	;; [unrolled: 1-line block ×3, first 2 shown]
	v_fma_f64 v[73:74], v[188:189], v[115:116], v[117:118]
	v_add_f64 v[123:124], v[87:88], v[91:92]
	v_add_f64 v[44:45], v[6:7], v[36:37]
	;; [unrolled: 1-line block ×3, first 2 shown]
	v_fma_f64 v[99:100], v[32:33], v[139:140], -v[121:122]
	v_fma_f64 v[32:33], v[192:193], v[139:140], v[141:142]
	v_add_f64 v[141:142], v[95:96], v[64:65]
	v_add_f64 v[105:106], v[8:9], v[38:39]
	v_fma_f64 v[77:78], v[190:191], v[119:120], v[77:78]
	v_add_f64 v[113:114], v[10:11], v[85:86]
	v_add_f64 v[168:169], v[71:72], v[58:59]
	v_add_f64 v[109:110], v[75:76], -v[79:80]
	v_fma_f64 v[60:61], v[60:61], v[160:161], -v[81:82]
	v_fma_f64 v[68:69], v[68:69], v[160:161], v[30:31]
	v_add_f64 v[30:31], v[4:5], v[2:3]
	v_add_f64 v[40:41], v[22:23], -v[52:53]
	v_fma_f64 v[4:5], v[34:35], -0.5, v[4:5]
	v_add_f64 v[81:82], v[56:57], v[66:67]
	v_add_f64 v[56:57], v[56:57], -v[66:67]
	v_fma_f64 v[6:7], v[42:43], -0.5, v[6:7]
	v_add_f64 v[46:47], v[22:23], v[52:53]
	v_fma_f64 v[8:9], v[107:108], -0.5, v[8:9]
	v_add_f64 v[117:118], v[20:21], v[83:84]
	v_add_f64 v[119:120], v[206:207], v[20:21]
	v_add_f64 v[20:21], v[20:21], -v[83:84]
	v_fma_f64 v[10:11], v[111:112], -0.5, v[10:11]
	v_add_f64 v[121:122], v[12:13], v[87:88]
	v_add_f64 v[139:140], v[89:90], -v[54:55]
	v_fma_f64 v[12:13], v[123:124], -0.5, v[12:13]
	v_add_f64 v[143:144], v[14:15], v[95:96]
	v_add_f64 v[160:161], v[24:25], v[93:94]
	;; [unrolled: 1-line block ×3, first 2 shown]
	v_add_f64 v[24:25], v[24:25], -v[93:94]
	v_fma_f64 v[14:15], v[141:142], -0.5, v[14:15]
	v_add_f64 v[166:167], v[16:17], v[71:72]
	v_add_f64 v[170:171], v[26:27], -v[73:74]
	v_fma_f64 v[16:17], v[168:169], -0.5, v[16:17]
	v_fma_f64 v[28:29], v[194:195], v[156:157], v[28:29]
	v_add_f64 v[172:173], v[99:100], v[97:98]
	v_add_f64 v[186:187], v[101:102], v[60:61]
	;; [unrolled: 1-line block ×3, first 2 shown]
	v_fma_f64 v[123:124], v[40:41], s[4:5], v[4:5]
	v_fma_f64 v[4:5], v[40:41], s[6:7], v[4:5]
	v_add_f64 v[44:45], v[44:45], v[50:51]
	v_fma_f64 v[40:41], v[56:57], s[4:5], v[6:7]
	v_fma_f64 v[6:7], v[56:57], s[6:7], v[6:7]
	v_fma_f64 v[42:43], v[46:47], -0.5, v[200:201]
	v_add_f64 v[46:47], v[105:106], v[164:165]
	v_fma_f64 v[56:57], v[109:110], s[4:5], v[8:9]
	v_fma_f64 v[8:9], v[109:110], s[6:7], v[8:9]
	v_add_f64 v[111:112], v[113:114], v[158:159]
	v_fma_f64 v[109:110], v[20:21], s[4:5], v[10:11]
	v_fma_f64 v[10:11], v[20:21], s[6:7], v[10:11]
	v_add_f64 v[113:114], v[121:122], v[91:92]
	v_fma_f64 v[20:21], v[139:140], s[4:5], v[12:13]
	v_fma_f64 v[12:13], v[139:140], s[6:7], v[12:13]
	v_fma_f64 v[107:108], v[117:118], -0.5, v[206:207]
	v_add_f64 v[117:118], v[143:144], v[64:65]
	v_fma_f64 v[139:140], v[24:25], s[4:5], v[14:15]
	v_fma_f64 v[14:15], v[24:25], s[6:7], v[14:15]
	v_add_f64 v[121:122], v[166:167], v[58:59]
	v_fma_f64 v[24:25], v[170:171], s[4:5], v[16:17]
	v_add_f64 v[22:23], v[200:201], v[22:23]
	v_add_f64 v[115:116], v[75:76], v[79:80]
	;; [unrolled: 1-line block ×4, first 2 shown]
	v_add_f64 v[184:185], v[32:33], -v[77:78]
	v_add_f64 v[188:189], v[0:1], v[101:102]
	v_add_f64 v[34:35], v[28:29], -v[68:69]
	v_fma_f64 v[18:19], v[172:173], -0.5, v[18:19]
	v_fma_f64 v[0:1], v[186:187], -0.5, v[0:1]
	ds_write2_b64 v235, v[30:31], v[123:124] offset1:3
	ds_write_b64 v235, v[4:5] offset:48
	ds_write2_b64 v238, v[44:45], v[40:41] offset1:3
	ds_write_b64 v238, v[6:7] offset:48
	;; [unrolled: 2-line block ×6, first 2 shown]
	ds_write2_b64 v145, v[121:122], v[24:25] offset1:3
	v_add_f64 v[8:9], v[2:3], -v[48:49]
	v_add_f64 v[180:181], v[26:27], v[73:74]
	v_add_f64 v[182:183], v[212:213], v[26:27]
	;; [unrolled: 1-line block ×4, first 2 shown]
	v_fma_f64 v[81:82], v[81:82], -0.5, v[202:203]
	v_fma_f64 v[16:17], v[170:171], s[6:7], v[16:17]
	v_add_f64 v[121:122], v[36:37], -v[50:51]
	v_fma_f64 v[141:142], v[160:161], -0.5, v[210:211]
	v_lshlrev_b32_sdwa v4, v136, v70 dst_sel:DWORD dst_unused:UNUSED_PAD src0_sel:DWORD src1_sel:WORD_0
	v_add3_u32 v170, 0, v232, v234
	v_add_f64 v[75:76], v[204:205], v[75:76]
	v_add_f64 v[52:53], v[22:23], v[52:53]
	v_fma_f64 v[105:106], v[115:116], -0.5, v[204:205]
	v_fma_f64 v[115:116], v[156:157], -0.5, v[208:209]
	v_add_f64 v[156:157], v[174:175], v[97:98]
	v_add3_u32 v171, 0, v233, v4
	v_add_f64 v[160:161], v[188:189], v[60:61]
	v_add_f64 v[89:90], v[208:209], v[89:90]
	v_fma_f64 v[166:167], v[184:185], s[4:5], v[18:19]
	v_fma_f64 v[18:19], v[184:185], s[6:7], v[18:19]
	v_fma_f64 v[168:169], v[34:35], s[4:5], v[0:1]
	v_fma_f64 v[0:1], v[34:35], s[6:7], v[0:1]
	v_fma_f64 v[123:124], v[8:9], s[6:7], v[42:43]
	v_fma_f64 v[139:140], v[8:9], s[4:5], v[42:43]
	v_fma_f64 v[143:144], v[180:181], -0.5, v[212:213]
	v_fma_f64 v[109:110], v[26:27], -0.5, v[214:215]
	v_add_f64 v[111:112], v[214:215], v[32:33]
	ds_write_b64 v145, v[16:17] offset:48
	v_fma_f64 v[113:114], v[190:191], -0.5, v[196:197]
	v_add_f64 v[117:118], v[196:197], v[28:29]
	v_add_f64 v[85:86], v[85:86], -v[158:159]
	v_add_f64 v[87:88], v[87:88], -v[91:92]
	v_add_f64 v[66:67], v[103:104], v[66:67]
	v_add_f64 v[64:65], v[95:96], -v[64:65]
	v_fma_f64 v[91:92], v[121:122], s[6:7], v[81:82]
	v_add_f64 v[58:59], v[71:72], -v[58:59]
	v_add_f64 v[70:71], v[99:100], -v[97:98]
	v_add_f64 v[75:76], v[75:76], v[79:80]
	v_add_f64 v[83:84], v[119:120], v[83:84]
	;; [unrolled: 1-line block ×3, first 2 shown]
	ds_write2_b64 v170, v[156:157], v[166:167] offset1:3
	ds_write_b64 v170, v[18:19] offset:48
	ds_write2_b64 v171, v[160:161], v[168:169] offset1:3
	v_add_f64 v[156:157], v[38:39], -v[164:165]
	ds_write_b64 v171, v[0:1] offset:48
	s_waitcnt lgkmcnt(0)
	s_barrier
	buffer_gl0_inv
	ds_read_b64 v[56:57], v147 offset:13104
	ds_read2_b64 v[4:7], v147 offset1:63
	ds_read2_b64 v[0:3], v149 offset0:120 offset1:183
	ds_read2_b64 v[48:51], v148 offset0:110 offset1:173
	;; [unrolled: 1-line block ×12, first 2 shown]
	s_waitcnt lgkmcnt(0)
	s_barrier
	buffer_gl0_inv
	ds_write2_b64 v235, v[52:53], v[123:124] offset1:3
	ds_write_b64 v235, v[139:140] offset:48
	v_add_f64 v[52:53], v[101:102], -v[60:61]
	v_fma_f64 v[60:61], v[121:122], s[4:5], v[81:82]
	v_fma_f64 v[95:96], v[85:86], s[6:7], v[107:108]
	;; [unrolled: 1-line block ×5, first 2 shown]
	ds_write2_b64 v238, v[66:67], v[91:92] offset1:3
	v_fma_f64 v[79:80], v[156:157], s[6:7], v[105:106]
	v_fma_f64 v[64:65], v[64:65], s[4:5], v[141:142]
	v_add_f64 v[66:67], v[182:183], v[73:74]
	v_fma_f64 v[72:73], v[58:59], s[6:7], v[143:144]
	v_add_f64 v[77:78], v[111:112], v[77:78]
	v_fma_f64 v[99:100], v[70:71], s[6:7], v[109:110]
	v_fma_f64 v[70:71], v[70:71], s[4:5], v[109:110]
	;; [unrolled: 1-line block ×4, first 2 shown]
	v_add_f64 v[93:94], v[162:163], v[93:94]
	v_fma_f64 v[91:92], v[58:59], s[4:5], v[143:144]
	v_add_f64 v[68:69], v[117:118], v[68:69]
	v_mul_lo_u16 v58, v62, 57
	v_mul_lo_u16 v59, v63, 57
	v_mov_b32_e32 v169, 0xd8
	v_fma_f64 v[101:102], v[52:53], s[6:7], v[113:114]
	v_fma_f64 v[52:53], v[52:53], s[4:5], v[113:114]
	ds_write_b64 v238, v[60:61] offset:48
	ds_write2_b64 v239, v[75:76], v[79:80] offset1:3
	ds_write_b64 v239, v[81:82] offset:48
	ds_write2_b64 v125, v[83:84], v[95:96] offset1:3
	;; [unrolled: 2-line block ×7, first 2 shown]
	v_lshrrev_b16 v61, 9, v58
	ds_write_b64 v171, v[52:53] offset:48
	v_mul_lo_u16 v52, v127, 57
	v_lshrrev_b16 v58, 9, v59
	v_mov_b32_e32 v96, 0xe38f
	v_mul_lo_u16 v54, v61, 9
	v_mul_lo_u16 v53, v138, 57
	v_lshrrev_b16 v124, 9, v52
	v_mul_lo_u16 v55, v58, 9
	v_mul_u32_u24_sdwa v52, v132, v96 dst_sel:DWORD dst_unused:UNUSED_PAD src0_sel:WORD_0 src1_sel:DWORD
	v_sub_nc_u16 v60, v220, v54
	v_lshrrev_b16 v125, 9, v53
	v_mul_lo_u16 v64, v124, 9
	v_sub_nc_u16 v59, v126, v55
	v_lshrrev_b32_e32 v143, 19, v52
	v_lshlrev_b32_sdwa v108, v131, v60 dst_sel:DWORD dst_unused:UNUSED_PAD src0_sel:DWORD src1_sel:BYTE_0
	v_mul_lo_u16 v65, v125, 9
	v_sub_nc_u16 v144, v146, v64
	v_lshlrev_b32_sdwa v68, v131, v59 dst_sel:DWORD dst_unused:UNUSED_PAD src0_sel:DWORD src1_sel:BYTE_0
	v_mul_lo_u16 v72, v143, 9
	v_mul_u32_u24_sdwa v73, v133, v96 dst_sel:DWORD dst_unused:UNUSED_PAD src0_sel:WORD_0 src1_sel:DWORD
	v_mul_u32_u24_sdwa v80, v134, v96 dst_sel:DWORD dst_unused:UNUSED_PAD src0_sel:WORD_0 src1_sel:DWORD
	v_lshlrev_b32_sdwa v76, v131, v144 dst_sel:DWORD dst_unused:UNUSED_PAD src0_sel:DWORD src1_sel:BYTE_0
	v_mul_u32_u24_sdwa v97, v135, v96 dst_sel:DWORD dst_unused:UNUSED_PAD src0_sel:WORD_0 src1_sel:DWORD
	v_mul_u32_u24_sdwa v96, v137, v96 dst_sel:DWORD dst_unused:UNUSED_PAD src0_sel:WORD_0 src1_sel:DWORD
	s_waitcnt lgkmcnt(0)
	s_barrier
	buffer_gl0_inv
	global_load_dwordx4 v[52:55], v108, s[8:9] offset:112
	v_sub_nc_u16 v145, v221, v65
	s_clause 0x1
	global_load_dwordx4 v[64:67], v68, s[8:9] offset:112
	global_load_dwordx4 v[68:71], v68, s[8:9] offset:96
	v_sub_nc_u16 v160, v132, v72
	v_lshrrev_b32_e32 v161, 19, v73
	s_clause 0x1
	global_load_dwordx4 v[72:75], v76, s[8:9] offset:96
	global_load_dwordx4 v[76:79], v76, s[8:9] offset:112
	v_lshrrev_b32_e32 v162, 19, v80
	v_lshrrev_b32_e32 v164, 19, v97
	;; [unrolled: 1-line block ×3, first 2 shown]
	v_mul_lo_u16 v88, v161, 9
	v_lshlrev_b32_sdwa v84, v131, v145 dst_sel:DWORD dst_unused:UNUSED_PAD src0_sel:DWORD src1_sel:BYTE_0
	v_mul_lo_u16 v98, v162, 9
	v_mul_lo_u16 v104, v164, 9
	;; [unrolled: 1-line block ×3, first 2 shown]
	v_sub_nc_u16 v163, v133, v88
	v_lshlrev_b32_sdwa v92, v131, v160 dst_sel:DWORD dst_unused:UNUSED_PAD src0_sel:DWORD src1_sel:WORD_0
	v_sub_nc_u16 v165, v134, v98
	v_sub_nc_u16 v167, v135, v104
	;; [unrolled: 1-line block ×3, first 2 shown]
	v_lshlrev_b32_sdwa v100, v131, v163 dst_sel:DWORD dst_unused:UNUSED_PAD src0_sel:DWORD src1_sel:WORD_0
	s_clause 0x1
	global_load_dwordx4 v[80:83], v84, s[8:9] offset:112
	global_load_dwordx4 v[84:87], v84, s[8:9] offset:96
	v_lshlrev_b32_sdwa v112, v131, v165 dst_sel:DWORD dst_unused:UNUSED_PAD src0_sel:DWORD src1_sel:WORD_0
	v_lshlrev_b32_sdwa v120, v131, v167 dst_sel:DWORD dst_unused:UNUSED_PAD src0_sel:DWORD src1_sel:WORD_0
	;; [unrolled: 1-line block ×3, first 2 shown]
	s_clause 0xa
	global_load_dwordx4 v[88:91], v92, s[8:9] offset:96
	global_load_dwordx4 v[92:95], v92, s[8:9] offset:112
	;; [unrolled: 1-line block ×11, first 2 shown]
	v_mul_u32_u24_sdwa v61, v61, v169 dst_sel:DWORD dst_unused:UNUSED_PAD src0_sel:WORD_0 src1_sel:DWORD
	v_mul_u32_u24_e32 v143, 0xd8, v143
	v_mul_u32_u24_sdwa v170, v58, v169 dst_sel:DWORD dst_unused:UNUSED_PAD src0_sel:WORD_0 src1_sel:DWORD
	v_lshlrev_b32_sdwa v58, v136, v60 dst_sel:DWORD dst_unused:UNUSED_PAD src0_sel:DWORD src1_sel:BYTE_0
	v_lshlrev_b32_sdwa v60, v136, v160 dst_sel:DWORD dst_unused:UNUSED_PAD src0_sel:DWORD src1_sel:WORD_0
	v_lshlrev_b32_sdwa v160, v136, v163 dst_sel:DWORD dst_unused:UNUSED_PAD src0_sel:DWORD src1_sel:WORD_0
	;; [unrolled: 1-line block ×5, first 2 shown]
	v_add3_u32 v230, 0, v61, v58
	v_lshlrev_b32_sdwa v168, v136, v59 dst_sel:DWORD dst_unused:UNUSED_PAD src0_sel:DWORD src1_sel:BYTE_0
	v_add3_u32 v231, 0, v143, v60
	ds_read2_b64 v[58:61], v148 offset0:110 offset1:173
	v_mul_u32_u24_e32 v161, 0xd8, v161
	v_mul_u32_u24_e32 v162, 0xd8, v162
	;; [unrolled: 1-line block ×4, first 2 shown]
	v_mul_u32_u24_sdwa v124, v124, v169 dst_sel:DWORD dst_unused:UNUSED_PAD src0_sel:WORD_0 src1_sel:DWORD
	v_mul_u32_u24_sdwa v125, v125, v169 dst_sel:DWORD dst_unused:UNUSED_PAD src0_sel:WORD_0 src1_sel:DWORD
	v_lshlrev_b32_sdwa v144, v136, v144 dst_sel:DWORD dst_unused:UNUSED_PAD src0_sel:DWORD src1_sel:BYTE_0
	v_lshlrev_b32_sdwa v145, v136, v145 dst_sel:DWORD dst_unused:UNUSED_PAD src0_sel:DWORD src1_sel:BYTE_0
	v_add3_u32 v232, 0, v161, v160
	v_add3_u32 v233, 0, v162, v163
	v_add3_u32 v234, 0, v164, v165
	v_add3_u32 v235, 0, v166, v167
	v_add3_u32 v236, 0, v170, v168
	v_add3_u32 v237, 0, v124, v144
	v_add3_u32 v145, 0, v125, v145
	ds_read2_b64 v[160:163], v150 offset0:118 offset1:181
	ds_read2_b64 v[164:167], v151 offset0:108 offset1:171
	;; [unrolled: 1-line block ×7, first 2 shown]
	ds_read_b64 v[124:125], v147 offset:13104
	ds_read2_b64 v[192:195], v149 offset0:120 offset1:183
	ds_read2_b64 v[196:199], v147 offset1:63
	ds_read2_b64 v[200:203], v147 offset0:126 offset1:189
	ds_read2_b64 v[204:207], v128 offset0:124 offset1:187
	;; [unrolled: 1-line block ×3, first 2 shown]
	s_waitcnt vmcnt(0) lgkmcnt(0)
	s_barrier
	buffer_gl0_inv
	v_mul_lo_u16 v62, v62, 19
	v_mul_f64 v[143:144], v[58:59], v[54:55]
	v_mul_f64 v[212:213], v[60:61], v[66:67]
	;; [unrolled: 1-line block ×14, first 2 shown]
	v_fma_f64 v[48:49], v[48:49], v[52:53], -v[143:144]
	v_fma_f64 v[50:51], v[50:51], v[64:65], -v[212:213]
	v_fma_f64 v[60:61], v[60:61], v[64:65], v[66:67]
	v_mul_f64 v[64:65], v[182:183], v[106:107]
	v_mul_f64 v[66:67], v[42:43], v[106:107]
	;; [unrolled: 1-line block ×4, first 2 shown]
	v_fma_f64 v[44:45], v[44:45], v[68:69], -v[214:215]
	v_fma_f64 v[68:69], v[160:161], v[68:69], v[70:71]
	v_fma_f64 v[46:47], v[46:47], v[72:73], -v[216:217]
	v_mul_f64 v[143:144], v[186:187], v[118:119]
	v_fma_f64 v[72:73], v[162:163], v[72:73], v[74:75]
	v_mul_f64 v[74:75], v[188:189], v[122:123]
	v_mul_f64 v[160:161], v[190:191], v[141:142]
	v_fma_f64 v[28:29], v[28:29], v[76:77], -v[218:219]
	v_fma_f64 v[76:77], v[164:165], v[76:77], v[78:79]
	v_mul_f64 v[78:79], v[124:125], v[158:159]
	v_mul_f64 v[226:227], v[170:171], v[90:91]
	v_mul_f64 v[228:229], v[172:173], v[94:95]
	v_fma_f64 v[52:53], v[58:59], v[52:53], v[54:55]
	v_mul_f64 v[54:55], v[174:175], v[98:99]
	v_mul_f64 v[58:59], v[26:27], v[98:99]
	;; [unrolled: 1-line block ×12, first 2 shown]
	v_fma_f64 v[30:31], v[30:31], v[80:81], -v[222:223]
	v_fma_f64 v[80:81], v[166:167], v[80:81], v[82:83]
	v_fma_f64 v[20:21], v[20:21], v[84:85], -v[224:225]
	v_fma_f64 v[82:83], v[168:169], v[84:85], v[86:87]
	;; [unrolled: 2-line block ×3, first 2 shown]
	v_fma_f64 v[38:39], v[38:39], v[116:117], -v[143:144]
	v_fma_f64 v[32:33], v[32:33], v[120:121], -v[74:75]
	;; [unrolled: 1-line block ×10, first 2 shown]
	v_fma_f64 v[86:87], v[170:171], v[88:89], v[90:91]
	v_fma_f64 v[88:89], v[172:173], v[92:93], v[94:95]
	;; [unrolled: 1-line block ×10, first 2 shown]
	v_add_f64 v[94:95], v[2:3], v[48:49]
	v_add_f64 v[102:103], v[84:85], v[52:53]
	;; [unrolled: 1-line block ×10, first 2 shown]
	v_add_f64 v[96:97], v[84:85], -v[52:53]
	v_add_f64 v[166:167], v[42:43], v[36:37]
	v_add_f64 v[100:101], v[6:7], v[44:45]
	;; [unrolled: 1-line block ×8, first 2 shown]
	v_add_f64 v[168:169], v[64:65], -v[66:67]
	v_add_f64 v[172:173], v[18:19], v[32:33]
	v_add_f64 v[174:175], v[64:65], v[66:67]
	;; [unrolled: 1-line block ×5, first 2 shown]
	v_add_f64 v[74:75], v[74:75], -v[70:71]
	v_add_f64 v[186:187], v[0:1], v[34:35]
	v_add_f64 v[188:189], v[90:91], v[78:79]
	;; [unrolled: 1-line block ×3, first 2 shown]
	v_add_f64 v[90:91], v[90:91], -v[78:79]
	v_add_f64 v[2:3], v[2:3], -v[48:49]
	;; [unrolled: 1-line block ×3, first 2 shown]
	v_fma_f64 v[4:5], v[94:95], -0.5, v[4:5]
	v_fma_f64 v[34:35], v[102:103], -0.5, v[196:197]
	;; [unrolled: 1-line block ×4, first 2 shown]
	v_add_f64 v[106:107], v[198:199], v[68:69]
	v_add_f64 v[68:69], v[68:69], -v[60:61]
	v_fma_f64 v[6:7], v[98:99], -0.5, v[6:7]
	v_add_f64 v[108:109], v[8:9], v[46:47]
	v_add_f64 v[112:113], v[72:73], -v[76:77]
	v_fma_f64 v[8:9], v[110:111], -0.5, v[8:9]
	v_add_f64 v[116:117], v[10:11], v[20:21]
	v_add_f64 v[72:73], v[200:201], v[72:73]
	;; [unrolled: 1-line block ×3, first 2 shown]
	v_add_f64 v[82:83], v[82:83], -v[80:81]
	v_add_f64 v[141:142], v[86:87], -v[88:89]
	v_add_f64 v[86:87], v[204:205], v[86:87]
	v_fma_f64 v[10:11], v[114:115], -0.5, v[10:11]
	v_add_f64 v[124:125], v[12:13], v[22:23]
	v_fma_f64 v[12:13], v[139:140], -0.5, v[12:13]
	v_add_f64 v[156:157], v[14:15], v[40:41]
	v_add_f64 v[162:163], v[206:207], v[58:59]
	v_add_f64 v[58:59], v[58:59], -v[54:55]
	v_fma_f64 v[14:15], v[143:144], -0.5, v[14:15]
	v_add_f64 v[164:165], v[16:17], v[42:43]
	v_fma_f64 v[16:17], v[166:167], -0.5, v[16:17]
	v_add_f64 v[44:45], v[44:45], -v[50:51]
	v_add_f64 v[46:47], v[46:47], -v[28:29]
	v_add_f64 v[20:21], v[20:21], -v[30:31]
	v_add_f64 v[22:23], v[22:23], -v[24:25]
	v_add_f64 v[40:41], v[40:41], -v[26:27]
	v_add_f64 v[42:43], v[42:43], -v[36:37]
	v_add_f64 v[194:195], v[32:33], -v[38:39]
	v_add_f64 v[32:33], v[92:93], v[48:49]
	v_fma_f64 v[48:49], v[104:105], -0.5, v[198:199]
	v_add_f64 v[50:51], v[100:101], v[50:51]
	v_fma_f64 v[92:93], v[118:119], -0.5, v[200:201]
	v_fma_f64 v[94:95], v[120:121], -0.5, v[202:203]
	;; [unrolled: 1-line block ×6, first 2 shown]
	v_add_f64 v[52:53], v[84:85], v[52:53]
	v_add_f64 v[64:65], v[64:65], v[66:67]
	;; [unrolled: 1-line block ×3, first 2 shown]
	v_fma_f64 v[70:71], v[96:97], s[4:5], v[4:5]
	v_fma_f64 v[4:5], v[96:97], s[6:7], v[4:5]
	;; [unrolled: 1-line block ×9, first 2 shown]
	v_add_f64 v[28:29], v[108:109], v[28:29]
	v_fma_f64 v[68:69], v[112:113], s[4:5], v[8:9]
	v_fma_f64 v[8:9], v[112:113], s[6:7], v[8:9]
	v_add_f64 v[30:31], v[116:117], v[30:31]
	v_add_f64 v[72:73], v[72:73], v[76:77]
	;; [unrolled: 1-line block ×4, first 2 shown]
	v_fma_f64 v[86:87], v[82:83], s[4:5], v[10:11]
	v_fma_f64 v[10:11], v[82:83], s[6:7], v[10:11]
	v_add_f64 v[24:25], v[124:125], v[24:25]
	v_fma_f64 v[82:83], v[141:142], s[4:5], v[12:13]
	v_fma_f64 v[108:109], v[188:189], -0.5, v[192:193]
	v_fma_f64 v[12:13], v[141:142], s[6:7], v[12:13]
	v_add_f64 v[26:27], v[156:157], v[26:27]
	v_fma_f64 v[88:89], v[58:59], s[4:5], v[14:15]
	v_fma_f64 v[14:15], v[58:59], s[6:7], v[14:15]
	v_add_f64 v[36:37], v[164:165], v[36:37]
	v_fma_f64 v[58:59], v[168:169], s[4:5], v[16:17]
	v_fma_f64 v[16:17], v[168:169], s[6:7], v[16:17]
	v_add_f64 v[38:39], v[172:173], v[38:39]
	v_add_f64 v[56:57], v[186:187], v[56:57]
	;; [unrolled: 1-line block ×4, first 2 shown]
	v_fma_f64 v[106:107], v[2:3], s[4:5], v[34:35]
	v_fma_f64 v[110:111], v[44:45], s[6:7], v[48:49]
	;; [unrolled: 1-line block ×13, first 2 shown]
	ds_write2_b64 v230, v[32:33], v[70:71] offset1:9
	ds_write_b64 v230, v[4:5] offset:144
	ds_write2_b64 v236, v[50:51], v[84:85] offset1:9
	ds_write_b64 v236, v[6:7] offset:144
	;; [unrolled: 2-line block ×9, first 2 shown]
	s_waitcnt lgkmcnt(0)
	s_barrier
	buffer_gl0_inv
	ds_read_b64 v[124:125], v147 offset:13104
	ds_read2_b64 v[16:19], v147 offset1:63
	ds_read2_b64 v[0:3], v149 offset0:120 offset1:183
	ds_read2_b64 v[48:51], v148 offset0:110 offset1:173
	;; [unrolled: 1-line block ×12, first 2 shown]
	s_waitcnt lgkmcnt(0)
	s_barrier
	buffer_gl0_inv
	ds_write2_b64 v230, v[52:53], v[90:91] offset1:9
	v_fma_f64 v[52:53], v[194:195], s[6:7], v[104:105]
	v_fma_f64 v[56:57], v[194:195], s[4:5], v[104:105]
	v_add_f64 v[58:59], v[190:191], v[78:79]
	v_fma_f64 v[68:69], v[212:213], s[6:7], v[108:109]
	v_fma_f64 v[70:71], v[212:213], s[4:5], v[108:109]
	ds_write_b64 v230, v[106:107] offset:144
	ds_write2_b64 v236, v[60:61], v[110:111] offset1:9
	ds_write_b64 v236, v[112:113] offset:144
	ds_write2_b64 v237, v[72:73], v[114:115] offset1:9
	;; [unrolled: 2-line block ×7, first 2 shown]
	ds_write_b64 v234, v[56:57] offset:144
	v_mul_lo_u16 v52, v63, 19
	v_mov_b32_e32 v80, 0x2f69
	v_mul_lo_u16 v57, v138, 19
	ds_write2_b64 v235, v[58:59], v[68:69] offset1:9
	ds_write_b64 v235, v[70:71] offset:144
	v_lshrrev_b16 v139, 9, v62
	v_lshrrev_b16 v141, 9, v52
	v_mul_lo_u16 v52, v127, 19
	v_mul_u32_u24_sdwa v58, v132, v80 dst_sel:DWORD dst_unused:UNUSED_PAD src0_sel:WORD_0 src1_sel:DWORD
	v_lshrrev_b16 v144, 9, v57
	v_mul_lo_u16 v60, v139, 27
	v_mul_lo_u16 v56, v141, 27
	v_lshrrev_b16 v142, 9, v52
	v_lshrrev_b32_e32 v72, 16, v58
	v_mul_u32_u24_sdwa v57, v133, v80 dst_sel:DWORD dst_unused:UNUSED_PAD src0_sel:WORD_0 src1_sel:DWORD
	v_mul_lo_u16 v64, v144, 27
	v_sub_nc_u16 v143, v126, v56
	v_mul_lo_u16 v56, v142, 27
	v_sub_nc_u16 v65, v132, v72
	v_sub_nc_u16 v140, v220, v60
	v_lshrrev_b32_e32 v81, 16, v57
	v_sub_nc_u16 v156, v221, v64
	v_sub_nc_u16 v145, v146, v56
	v_mul_u32_u24_sdwa v75, v134, v80 dst_sel:DWORD dst_unused:UNUSED_PAD src0_sel:WORD_0 src1_sel:DWORD
	v_lshrrev_b16 v73, 1, v65
	v_lshlrev_b32_sdwa v96, v131, v140 dst_sel:DWORD dst_unused:UNUSED_PAD src0_sel:DWORD src1_sel:BYTE_0
	v_lshlrev_b32_sdwa v58, v131, v143 dst_sel:DWORD dst_unused:UNUSED_PAD src0_sel:DWORD src1_sel:BYTE_0
	;; [unrolled: 1-line block ×3, first 2 shown]
	v_sub_nc_u16 v74, v133, v81
	v_lshlrev_b32_sdwa v82, v131, v156 dst_sel:DWORD dst_unused:UNUSED_PAD src0_sel:DWORD src1_sel:BYTE_0
	v_lshrrev_b32_e32 v84, 16, v75
	v_add_nc_u16 v83, v73, v72
	v_mul_u32_u24_sdwa v86, v135, v80 dst_sel:DWORD dst_unused:UNUSED_PAD src0_sel:WORD_0 src1_sel:DWORD
	s_waitcnt lgkmcnt(0)
	s_barrier
	buffer_gl0_inv
	s_clause 0x4
	global_load_dwordx4 v[52:55], v96, s[8:9] offset:400
	global_load_dwordx4 v[60:63], v58, s[8:9] offset:400
	;; [unrolled: 1-line block ×5, first 2 shown]
	v_lshrrev_b16 v85, 1, v74
	s_clause 0x1
	global_load_dwordx4 v[76:79], v82, s[8:9] offset:400
	global_load_dwordx4 v[72:75], v82, s[8:9] offset:384
	v_sub_nc_u16 v82, v134, v84
	v_mul_u32_u24_sdwa v80, v137, v80 dst_sel:DWORD dst_unused:UNUSED_PAD src0_sel:WORD_0 src1_sel:DWORD
	v_lshrrev_b16 v157, 4, v83
	v_lshrrev_b32_e32 v83, 16, v86
	v_add_nc_u16 v81, v85, v81
	v_lshrrev_b16 v82, 1, v82
	v_lshrrev_b32_e32 v87, 16, v80
	v_mul_lo_u16 v85, v157, 27
	v_sub_nc_u16 v86, v135, v83
	v_lshrrev_b16 v160, 4, v81
	v_add_nc_u16 v80, v82, v84
	v_sub_nc_u16 v84, v137, v87
	v_sub_nc_u16 v159, v132, v85
	v_lshrrev_b16 v81, 1, v86
	v_mul_lo_u16 v82, v160, 27
	v_lshrrev_b16 v162, 4, v80
	v_lshrrev_b16 v84, 1, v84
	v_lshlrev_b32_sdwa v85, v131, v159 dst_sel:DWORD dst_unused:UNUSED_PAD src0_sel:DWORD src1_sel:WORD_0
	v_add_nc_u16 v86, v81, v83
	v_sub_nc_u16 v161, v133, v82
	v_mul_lo_u16 v88, v162, 27
	v_add_nc_u16 v93, v84, v87
	global_load_dwordx4 v[80:83], v85, s[8:9] offset:384
	v_lshrrev_b16 v164, 4, v86
	v_lshlrev_b32_sdwa v92, v131, v161 dst_sel:DWORD dst_unused:UNUSED_PAD src0_sel:DWORD src1_sel:WORD_0
	v_sub_nc_u16 v163, v134, v88
	v_lshrrev_b16 v166, 4, v93
	global_load_dwordx4 v[116:119], v96, s[8:9] offset:384
	v_mul_lo_u16 v97, v164, 27
	s_clause 0x1
	global_load_dwordx4 v[88:91], v92, s[8:9] offset:400
	global_load_dwordx4 v[92:95], v92, s[8:9] offset:384
	v_mul_lo_u16 v101, v166, 27
	v_lshlrev_b32_sdwa v100, v131, v163 dst_sel:DWORD dst_unused:UNUSED_PAD src0_sel:DWORD src1_sel:WORD_0
	v_sub_nc_u16 v165, v135, v97
	global_load_dwordx4 v[84:87], v85, s[8:9] offset:400
	v_lshlrev_b32_e32 v169, 1, v220
	v_sub_nc_u16 v167, v137, v101
	global_load_dwordx4 v[96:99], v100, s[8:9] offset:384
	v_lshlrev_b32_sdwa v104, v131, v165 dst_sel:DWORD dst_unused:UNUSED_PAD src0_sel:DWORD src1_sel:WORD_0
	s_clause 0x1
	global_load_dwordx4 v[108:111], v100, s[8:9] offset:400
	global_load_dwordx4 v[100:103], v104, s[8:9] offset:400
	v_lshlrev_b32_sdwa v120, v131, v167 dst_sel:DWORD dst_unused:UNUSED_PAD src0_sel:DWORD src1_sel:WORD_0
	s_clause 0x2
	global_load_dwordx4 v[104:107], v104, s[8:9] offset:384
	global_load_dwordx4 v[112:115], v120, s[8:9] offset:384
	;; [unrolled: 1-line block ×3, first 2 shown]
	v_mov_b32_e32 v170, 0
	v_subrev_nc_u32_e32 v158, 18, v220
	v_mov_b32_e32 v175, 0x288
	v_lshlrev_b32_sdwa v140, v136, v140 dst_sel:DWORD dst_unused:UNUSED_PAD src0_sel:DWORD src1_sel:BYTE_0
	v_lshlrev_b32_sdwa v143, v136, v143 dst_sel:DWORD dst_unused:UNUSED_PAD src0_sel:DWORD src1_sel:BYTE_0
	v_lshlrev_b64 v[171:172], 4, v[169:170]
	v_cndmask_b32_e64 v158, v158, v126, s0
	v_mul_u32_u24_sdwa v141, v141, v175 dst_sel:DWORD dst_unused:UNUSED_PAD src0_sel:WORD_0 src1_sel:DWORD
	v_mul_u32_u24_sdwa v142, v142, v175 dst_sel:DWORD dst_unused:UNUSED_PAD src0_sel:WORD_0 src1_sel:DWORD
	v_lshlrev_b32_sdwa v145, v136, v145 dst_sel:DWORD dst_unused:UNUSED_PAD src0_sel:DWORD src1_sel:BYTE_0
	v_mul_u32_u24_sdwa v144, v144, v175 dst_sel:DWORD dst_unused:UNUSED_PAD src0_sel:WORD_0 src1_sel:DWORD
	v_add_co_u32 v126, s0, s8, v171
	v_mul_u32_u24_sdwa v171, v139, v175 dst_sel:DWORD dst_unused:UNUSED_PAD src0_sel:WORD_0 src1_sel:DWORD
	v_lshlrev_b32_sdwa v156, v136, v156 dst_sel:DWORD dst_unused:UNUSED_PAD src0_sel:DWORD src1_sel:BYTE_0
	v_add3_u32 v235, 0, v141, v143
	v_add3_u32 v236, 0, v142, v145
	v_lshlrev_b32_e32 v169, 1, v158
	v_add3_u32 v234, 0, v171, v140
	ds_read2_b64 v[140:143], v148 offset0:110 offset1:173
	v_mul_lo_u16 v173, 0xcb, v127
	v_add3_u32 v237, 0, v144, v156
	v_mul_u32_u24_sdwa v144, v157, v175 dst_sel:DWORD dst_unused:UNUSED_PAD src0_sel:WORD_0 src1_sel:DWORD
	v_mul_u32_u24_sdwa v145, v160, v175 dst_sel:DWORD dst_unused:UNUSED_PAD src0_sel:WORD_0 src1_sel:DWORD
	;; [unrolled: 1-line block ×5, first 2 shown]
	v_lshlrev_b32_sdwa v159, v136, v159 dst_sel:DWORD dst_unused:UNUSED_PAD src0_sel:DWORD src1_sel:WORD_0
	v_lshlrev_b32_sdwa v161, v136, v161 dst_sel:DWORD dst_unused:UNUSED_PAD src0_sel:DWORD src1_sel:WORD_0
	;; [unrolled: 1-line block ×5, first 2 shown]
	v_mul_lo_u16 v233, 0xcb, v138
	v_add_co_ci_u32_e64 v127, s0, s9, v172, s0
	v_lshrrev_b16 v138, 14, v173
	v_lshlrev_b64 v[173:174], 4, v[169:170]
	v_add3_u32 v167, 0, v144, v159
	v_add3_u32 v175, 0, v145, v161
	;; [unrolled: 1-line block ×5, first 2 shown]
	ds_read2_b64 v[159:162], v150 offset0:118 offset1:181
	ds_read2_b64 v[163:166], v151 offset0:108 offset1:171
	;; [unrolled: 1-line block ×7, first 2 shown]
	ds_read_b64 v[144:145], v147 offset:13104
	ds_read2_b64 v[196:199], v149 offset0:120 offset1:183
	ds_read2_b64 v[200:203], v147 offset1:63
	ds_read2_b64 v[204:207], v147 offset0:126 offset1:189
	ds_read2_b64 v[208:211], v128 offset0:124 offset1:187
	ds_read2_b64 v[212:215], v154 offset0:122 offset1:185
	v_mov_b32_e32 v168, 0x6523
	v_mul_lo_u16 v139, 0x51, v138
	s_waitcnt vmcnt(0) lgkmcnt(0)
	s_barrier
	buffer_gl0_inv
	v_mul_u32_u24_sdwa v232, v132, v168 dst_sel:DWORD dst_unused:UNUSED_PAD src0_sel:WORD_0 src1_sel:DWORD
	v_sub_nc_u16 v139, v146, v139
	v_mul_f64 v[156:157], v[140:141], v[54:55]
	v_mul_f64 v[54:55], v[48:49], v[54:55]
	;; [unrolled: 1-line block ×14, first 2 shown]
	v_fma_f64 v[48:49], v[48:49], v[52:53], -v[156:157]
	v_fma_f64 v[52:53], v[140:141], v[52:53], v[54:55]
	v_fma_f64 v[50:51], v[50:51], v[60:61], -v[216:217]
	v_fma_f64 v[60:61], v[142:143], v[60:61], v[62:63]
	;; [unrolled: 2-line block ×5, first 2 shown]
	v_mul_f64 v[142:143], v[198:199], v[118:119]
	v_mul_f64 v[118:119], v[2:3], v[118:119]
	;; [unrolled: 1-line block ×12, first 2 shown]
	v_fma_f64 v[42:43], v[42:43], v[76:77], -v[226:227]
	v_fma_f64 v[76:77], v[165:166], v[76:77], v[78:79]
	v_mul_f64 v[156:157], v[188:189], v[110:111]
	v_mul_f64 v[70:71], v[24:25], v[110:111]
	;; [unrolled: 1-line block ×10, first 2 shown]
	v_fma_f64 v[36:37], v[36:37], v[72:73], -v[228:229]
	v_fma_f64 v[72:73], v[169:170], v[72:73], v[74:75]
	v_fma_f64 v[2:3], v[2:3], v[116:117], -v[142:143]
	v_fma_f64 v[74:75], v[198:199], v[116:117], v[118:119]
	;; [unrolled: 2-line block ×7, first 2 shown]
	v_fma_f64 v[26:27], v[26:27], v[100:101], -v[110:111]
	v_fma_f64 v[24:25], v[24:25], v[108:109], -v[156:157]
	;; [unrolled: 1-line block ×3, first 2 shown]
	v_fma_f64 v[70:71], v[188:189], v[108:109], v[70:71]
	v_fma_f64 v[22:23], v[22:23], v[112:113], -v[106:107]
	v_fma_f64 v[88:89], v[124:125], v[120:121], -v[161:162]
	v_fma_f64 v[84:85], v[190:191], v[100:101], v[102:103]
	v_fma_f64 v[66:67], v[192:193], v[104:105], v[66:67]
	;; [unrolled: 1-line block ×4, first 2 shown]
	v_add_f64 v[90:91], v[16:17], v[2:3]
	v_add_f64 v[92:93], v[2:3], v[48:49]
	;; [unrolled: 1-line block ×20, first 2 shown]
	v_add_f64 v[94:95], v[74:75], -v[52:53]
	v_add_f64 v[192:193], v[86:87], v[78:79]
	v_add_f64 v[74:75], v[200:201], v[74:75]
	v_add_f64 v[110:111], v[68:69], -v[64:65]
	v_add_f64 v[68:69], v[204:205], v[68:69]
	v_add_f64 v[180:181], v[6:7], v[20:21]
	v_add_f64 v[186:187], v[214:215], v[66:67]
	v_add_f64 v[66:67], v[66:67], -v[84:85]
	v_add_f64 v[190:191], v[0:1], v[22:23]
	v_add_f64 v[194:195], v[196:197], v[86:87]
	v_add_f64 v[86:87], v[86:87], -v[78:79]
	v_add_f64 v[2:3], v[2:3], -v[48:49]
	v_add_f64 v[48:49], v[90:91], v[48:49]
	v_fma_f64 v[16:17], v[92:93], -0.5, v[16:17]
	v_fma_f64 v[90:91], v[100:101], -0.5, v[200:201]
	v_add_f64 v[104:105], v[202:203], v[56:57]
	v_fma_f64 v[6:7], v[171:172], -0.5, v[6:7]
	v_add_f64 v[56:57], v[56:57], -v[60:61]
	v_add_f64 v[120:121], v[206:207], v[72:73]
	v_fma_f64 v[0:1], v[188:189], -0.5, v[0:1]
	v_add_f64 v[44:45], v[44:45], -v[50:51]
	v_fma_f64 v[18:19], v[96:97], -0.5, v[18:19]
	v_fma_f64 v[92:93], v[102:103], -0.5, v[202:203]
	v_add_f64 v[46:47], v[46:47], -v[40:41]
	v_fma_f64 v[12:13], v[108:109], -0.5, v[12:13]
	v_fma_f64 v[96:97], v[116:117], -0.5, v[204:205]
	v_add_f64 v[114:115], v[14:15], v[36:37]
	v_add_f64 v[72:73], v[72:73], -v[76:77]
	v_add_f64 v[140:141], v[54:55], -v[80:81]
	v_add_f64 v[54:55], v[208:209], v[54:55]
	v_add_f64 v[36:37], v[36:37], -v[42:43]
	v_add_f64 v[50:51], v[98:99], v[50:51]
	v_fma_f64 v[14:15], v[112:113], -0.5, v[14:15]
	v_fma_f64 v[98:99], v[118:119], -0.5, v[206:207]
	v_add_f64 v[122:123], v[8:9], v[38:39]
	v_add_f64 v[38:39], v[38:39], -v[32:33]
	v_fma_f64 v[8:9], v[124:125], -0.5, v[8:9]
	v_fma_f64 v[100:101], v[156:157], -0.5, v[208:209]
	v_add_f64 v[144:145], v[10:11], v[28:29]
	v_add_f64 v[161:162], v[210:211], v[82:83]
	v_add_f64 v[82:83], v[82:83], -v[62:63]
	v_add_f64 v[169:170], v[58:59], -v[70:71]
	v_add_f64 v[58:59], v[212:213], v[58:59]
	v_add_f64 v[28:29], v[28:29], -v[34:35]
	v_fma_f64 v[10:11], v[142:143], -0.5, v[10:11]
	v_fma_f64 v[102:103], v[159:160], -0.5, v[210:211]
	v_add_f64 v[163:164], v[4:5], v[30:31]
	v_add_f64 v[30:31], v[30:31], -v[24:25]
	v_add_f64 v[40:41], v[106:107], v[40:41]
	v_fma_f64 v[4:5], v[165:166], -0.5, v[4:5]
	v_fma_f64 v[106:107], v[182:183], -0.5, v[212:213]
	v_add_f64 v[20:21], v[20:21], -v[26:27]
	v_fma_f64 v[108:109], v[184:185], -0.5, v[214:215]
	v_add_f64 v[22:23], v[22:23], -v[88:89]
	v_fma_f64 v[112:113], v[192:193], -0.5, v[196:197]
	v_add_f64 v[52:53], v[74:75], v[52:53]
	v_add_f64 v[68:69], v[68:69], v[64:65]
	v_fma_f64 v[64:65], v[94:95], s[4:5], v[16:17]
	v_fma_f64 v[16:17], v[94:95], s[6:7], v[16:17]
	;; [unrolled: 1-line block ×8, first 2 shown]
	v_add_f64 v[60:61], v[104:105], v[60:61]
	v_add_f64 v[74:75], v[120:121], v[76:77]
	;; [unrolled: 1-line block ×3, first 2 shown]
	v_fma_f64 v[78:79], v[56:57], s[4:5], v[18:19]
	v_fma_f64 v[104:105], v[44:45], s[6:7], v[92:93]
	;; [unrolled: 1-line block ×8, first 2 shown]
	v_add_f64 v[42:43], v[114:115], v[42:43]
	v_add_f64 v[54:55], v[54:55], v[80:81]
	v_fma_f64 v[80:81], v[72:73], s[4:5], v[14:15]
	v_fma_f64 v[114:115], v[36:37], s[6:7], v[98:99]
	;; [unrolled: 1-line block ×4, first 2 shown]
	v_add_f64 v[32:33], v[122:123], v[32:33]
	v_fma_f64 v[72:73], v[140:141], s[4:5], v[8:9]
	v_fma_f64 v[116:117], v[38:39], s[6:7], v[100:101]
	;; [unrolled: 1-line block ×4, first 2 shown]
	v_add_f64 v[34:35], v[144:145], v[34:35]
	v_add_f64 v[62:63], v[161:162], v[62:63]
	;; [unrolled: 1-line block ×4, first 2 shown]
	v_fma_f64 v[84:85], v[82:83], s[4:5], v[10:11]
	v_fma_f64 v[118:119], v[28:29], s[6:7], v[102:103]
	;; [unrolled: 1-line block ×4, first 2 shown]
	v_add_f64 v[24:25], v[163:164], v[24:25]
	v_fma_f64 v[82:83], v[169:170], s[4:5], v[4:5]
	v_fma_f64 v[120:121], v[30:31], s[6:7], v[106:107]
	;; [unrolled: 1-line block ×4, first 2 shown]
	v_add_f64 v[26:27], v[180:181], v[26:27]
	v_fma_f64 v[122:123], v[20:21], s[6:7], v[108:109]
	v_fma_f64 v[108:109], v[20:21], s[4:5], v[108:109]
	v_add_f64 v[88:89], v[190:191], v[88:89]
	v_fma_f64 v[124:125], v[22:23], s[6:7], v[112:113]
	v_fma_f64 v[112:113], v[22:23], s[4:5], v[112:113]
	ds_write2_b64 v234, v[48:49], v[64:65] offset1:27
	ds_write_b64 v234, v[16:17] offset:432
	ds_write2_b64 v235, v[50:51], v[78:79] offset1:27
	ds_write_b64 v235, v[18:19] offset:432
	;; [unrolled: 2-line block ×9, first 2 shown]
	s_waitcnt lgkmcnt(0)
	s_barrier
	buffer_gl0_inv
	ds_read2_b64 v[8:11], v147 offset1:63
	ds_read_b64 v[64:65], v147 offset:13104
	ds_read2_b64 v[0:3], v149 offset0:120 offset1:183
	ds_read2_b64 v[48:51], v148 offset0:110 offset1:173
	;; [unrolled: 1-line block ×12, first 2 shown]
	s_waitcnt lgkmcnt(0)
	s_barrier
	buffer_gl0_inv
	ds_write2_b64 v234, v[52:53], v[86:87] offset1:27
	ds_write_b64 v234, v[90:91] offset:432
	ds_write2_b64 v235, v[60:61], v[104:105] offset1:27
	ds_write_b64 v235, v[92:93] offset:432
	;; [unrolled: 2-line block ×9, first 2 shown]
	v_add_co_u32 v52, s0, s8, v173
	v_add_co_ci_u32_e64 v53, s0, s9, v174, s0
	v_lshlrev_b32_sdwa v60, v131, v139 dst_sel:DWORD dst_unused:UNUSED_PAD src0_sel:DWORD src1_sel:BYTE_0
	v_lshrrev_b16 v61, 14, v233
	v_lshrrev_b32_e32 v62, 21, v232
	v_mul_u32_u24_sdwa v63, v133, v168 dst_sel:DWORD dst_unused:UNUSED_PAD src0_sel:WORD_0 src1_sel:DWORD
	s_waitcnt lgkmcnt(0)
	s_barrier
	buffer_gl0_inv
	s_clause 0x2
	global_load_dwordx4 v[80:83], v[126:127], off offset:1264
	global_load_dwordx4 v[56:59], v[52:53], off offset:1264
	;; [unrolled: 1-line block ×3, first 2 shown]
	v_mul_lo_u16 v66, 0x51, v61
	v_mul_lo_u16 v62, 0x51, v62
	s_clause 0x1
	global_load_dwordx4 v[86:89], v60, s[8:9] offset:1248
	global_load_dwordx4 v[90:93], v60, s[8:9] offset:1264
	v_lshrrev_b32_e32 v60, 21, v63
	v_mul_u32_u24_sdwa v63, v137, v168 dst_sel:DWORD dst_unused:UNUSED_PAD src0_sel:WORD_0 src1_sel:DWORD
	v_sub_nc_u16 v66, v221, v66
	v_sub_nc_u16 v62, v132, v62
	v_mul_u32_u24_sdwa v67, v134, v168 dst_sel:DWORD dst_unused:UNUSED_PAD src0_sel:WORD_0 src1_sel:DWORD
	v_mul_lo_u16 v68, 0x51, v60
	v_lshrrev_b32_e32 v63, 21, v63
	v_lshlrev_b32_sdwa v69, v131, v66 dst_sel:DWORD dst_unused:UNUSED_PAD src0_sel:DWORD src1_sel:BYTE_0
	v_and_b32_e32 v62, 0xffff, v62
	v_lshrrev_b32_e32 v67, 21, v67
	v_sub_nc_u16 v68, v133, v68
	v_mul_lo_u16 v63, 0x51, v63
	s_clause 0x1
	global_load_dwordx4 v[94:97], v69, s[8:9] offset:1264
	global_load_dwordx4 v[98:101], v69, s[8:9] offset:1248
	v_lshlrev_b32_e32 v70, 5, v62
	v_mul_lo_u16 v69, 0x51, v67
	v_mul_u32_u24_sdwa v72, v135, v168 dst_sel:DWORD dst_unused:UNUSED_PAD src0_sel:WORD_0 src1_sel:DWORD
	v_sub_nc_u16 v63, v137, v63
	v_lshlrev_b32_sdwa v71, v131, v68 dst_sel:DWORD dst_unused:UNUSED_PAD src0_sel:DWORD src1_sel:WORD_0
	s_clause 0x1
	global_load_dwordx4 v[102:105], v70, s[8:9] offset:1248
	global_load_dwordx4 v[108:111], v70, s[8:9] offset:1264
	v_sub_nc_u16 v69, v134, v69
	v_lshrrev_b32_e32 v70, 21, v72
	v_and_b32_e32 v63, 0xffff, v63
	s_clause 0x1
	global_load_dwordx4 v[122:125], v71, s[8:9] offset:1264
	global_load_dwordx4 v[166:169], v71, s[8:9] offset:1248
	v_cmp_lt_u32_e64 s0, 17, v220
	v_lshlrev_b32_sdwa v72, v131, v69 dst_sel:DWORD dst_unused:UNUSED_PAD src0_sel:DWORD src1_sel:WORD_0
	v_mul_lo_u16 v73, 0x51, v70
	v_lshlrev_b32_e32 v71, 5, v63
	s_clause 0x1
	global_load_dwordx4 v[170:173], v72, s[8:9] offset:1248
	global_load_dwordx4 v[112:115], v71, s[8:9] offset:1248
	v_sub_nc_u16 v73, v135, v73
	s_clause 0x1
	global_load_dwordx4 v[116:119], v71, s[8:9] offset:1264
	global_load_dwordx4 v[132:135], v[126:127], off offset:1248
	v_mov_b32_e32 v74, 0x798
	v_lshlrev_b32_sdwa v68, v136, v68 dst_sel:DWORD dst_unused:UNUSED_PAD src0_sel:DWORD src1_sel:WORD_0
	v_lshlrev_b32_sdwa v69, v136, v69 dst_sel:DWORD dst_unused:UNUSED_PAD src0_sel:DWORD src1_sel:WORD_0
	;; [unrolled: 1-line block ×3, first 2 shown]
	s_clause 0x2
	global_load_dwordx4 v[180:183], v72, s[8:9] offset:1264
	global_load_dwordx4 v[184:187], v71, s[8:9] offset:1264
	;; [unrolled: 1-line block ×3, first 2 shown]
	v_cndmask_b32_e64 v71, 0, 0x798, s0
	v_lshlrev_b32_e32 v72, 3, v158
	v_lshlrev_b32_sdwa v66, v136, v66 dst_sel:DWORD dst_unused:UNUSED_PAD src0_sel:DWORD src1_sel:BYTE_0
	v_mul_u32_u24_e32 v60, 0x798, v60
	v_mul_u32_u24_e32 v67, 0x798, v67
	;; [unrolled: 1-line block ×3, first 2 shown]
	v_add3_u32 v156, 0, v71, v72
	v_mul_u32_u24_sdwa v71, v138, v74 dst_sel:DWORD dst_unused:UNUSED_PAD src0_sel:WORD_0 src1_sel:DWORD
	v_lshlrev_b32_sdwa v72, v136, v73 dst_sel:DWORD dst_unused:UNUSED_PAD src0_sel:DWORD src1_sel:WORD_0
	v_lshlrev_b32_sdwa v73, v136, v139 dst_sel:DWORD dst_unused:UNUSED_PAD src0_sel:DWORD src1_sel:BYTE_0
	ds_read2_b64 v[136:139], v148 offset0:110 offset1:173
	v_mul_u32_u24_sdwa v61, v61, v74 dst_sel:DWORD dst_unused:UNUSED_PAD src0_sel:WORD_0 src1_sel:DWORD
	ds_read2_b64 v[140:143], v150 offset0:118 offset1:181
	v_lshl_add_u32 v161, v62, 3, 0
	v_add3_u32 v158, 0, v60, v68
	v_add3_u32 v159, 0, v67, v69
	;; [unrolled: 1-line block ×3, first 2 shown]
	v_lshl_add_u32 v160, v63, 3, 0
	v_add3_u32 v164, 0, v71, v73
	v_add3_u32 v162, 0, v61, v66
	ds_read2_b64 v[192:195], v151 offset0:108 offset1:171
	ds_read2_b64 v[196:199], v129 offset0:116 offset1:179
	ds_read2_b64 v[200:203], v152 offset0:106 offset1:169
	ds_read2_b64 v[204:207], v153 offset0:114 offset1:177
	ds_read2_b64 v[208:211], v130 offset0:104 offset1:167
	ds_read2_b64 v[212:215], v155 offset0:112 offset1:175
	ds_read_b64 v[66:67], v147 offset:13104
	ds_read2_b64 v[60:63], v149 offset0:120 offset1:183
	ds_read2_b64 v[68:71], v128 offset0:124 offset1:187
	ds_read2_b64 v[76:79], v147 offset1:63
	ds_read2_b64 v[72:75], v147 offset0:126 offset1:189
	v_add_nc_u32_e32 v163, 0x1400, v161
	v_add_nc_u32_e32 v165, 0x2c00, v160
	v_cmp_gt_u32_e64 s0, 54, v220
	s_waitcnt vmcnt(17) lgkmcnt(12)
	v_mul_f64 v[84:85], v[136:137], v[82:83]
	v_mul_f64 v[82:83], v[48:49], v[82:83]
	s_waitcnt vmcnt(16)
	v_mul_f64 v[106:107], v[138:139], v[58:59]
	v_mul_f64 v[58:59], v[50:51], v[58:59]
	s_waitcnt vmcnt(14) lgkmcnt(11)
	v_mul_f64 v[126:127], v[142:143], v[88:89]
	v_mul_f64 v[88:89], v[46:47], v[88:89]
	;; [unrolled: 1-line block ×3, first 2 shown]
	s_waitcnt vmcnt(13) lgkmcnt(10)
	v_mul_f64 v[128:129], v[192:193], v[92:93]
	v_mul_f64 v[92:93], v[40:41], v[92:93]
	;; [unrolled: 1-line block ×3, first 2 shown]
	s_waitcnt vmcnt(12)
	v_mul_f64 v[144:145], v[194:195], v[96:97]
	s_waitcnt vmcnt(11) lgkmcnt(9)
	v_mul_f64 v[174:175], v[196:197], v[100:101]
	v_mul_f64 v[96:97], v[42:43], v[96:97]
	;; [unrolled: 1-line block ×3, first 2 shown]
	v_fma_f64 v[130:131], v[48:49], v[80:81], -v[84:85]
	s_waitcnt vmcnt(10)
	v_mul_f64 v[216:217], v[198:199], v[104:105]
	s_waitcnt vmcnt(9) lgkmcnt(8)
	v_mul_f64 v[218:219], v[200:201], v[110:111]
	v_mul_f64 v[110:111], v[32:33], v[110:111]
	s_waitcnt vmcnt(8)
	v_mul_f64 v[222:223], v[202:203], v[124:125]
	s_waitcnt vmcnt(7) lgkmcnt(7)
	v_mul_f64 v[224:225], v[204:205], v[168:169]
	v_mul_f64 v[104:105], v[38:39], v[104:105]
	v_fma_f64 v[82:83], v[136:137], v[80:81], v[82:83]
	v_fma_f64 v[84:85], v[138:139], v[56:57], v[58:59]
	;; [unrolled: 1-line block ×4, first 2 shown]
	v_mul_f64 v[124:125], v[34:35], v[124:125]
	s_waitcnt vmcnt(6)
	v_mul_f64 v[226:227], v[206:207], v[172:173]
	s_waitcnt vmcnt(5) lgkmcnt(5)
	v_mul_f64 v[228:229], v[214:215], v[114:115]
	v_mul_f64 v[114:115], v[26:27], v[114:115]
	s_waitcnt vmcnt(3) lgkmcnt(3)
	v_mul_f64 v[48:49], v[62:63], v[134:135]
	v_mul_f64 v[230:231], v[66:67], v[118:119]
	;; [unrolled: 1-line block ×4, first 2 shown]
	v_fma_f64 v[118:119], v[50:51], v[56:57], -v[106:107]
	v_fma_f64 v[134:135], v[44:45], v[52:53], -v[120:121]
	s_waitcnt vmcnt(2)
	v_mul_f64 v[50:51], v[208:209], v[182:183]
	v_mul_f64 v[56:57], v[28:29], v[182:183]
	s_waitcnt vmcnt(1)
	v_mul_f64 v[58:59], v[210:211], v[186:187]
	v_mul_f64 v[182:183], v[30:31], v[186:187]
	s_waitcnt vmcnt(0)
	v_mul_f64 v[186:187], v[212:213], v[190:191]
	v_fma_f64 v[120:121], v[46:47], v[86:87], -v[126:127]
	v_fma_f64 v[126:127], v[40:41], v[90:91], -v[128:129]
	;; [unrolled: 1-line block ×4, first 2 shown]
	v_fma_f64 v[86:87], v[194:195], v[94:95], v[96:97]
	v_fma_f64 v[138:139], v[196:197], v[98:99], v[100:101]
	v_fma_f64 v[98:99], v[38:39], v[102:103], -v[216:217]
	v_mul_f64 v[168:169], v[20:21], v[168:169]
	v_mul_f64 v[44:45], v[24:25], v[190:191]
	v_fma_f64 v[92:93], v[26:27], v[112:113], -v[228:229]
	v_fma_f64 v[96:97], v[214:215], v[112:113], v[114:115]
	v_fma_f64 v[142:143], v[2:3], v[132:133], -v[48:49]
	v_fma_f64 v[112:113], v[32:33], v[108:109], -v[218:219]
	;; [unrolled: 1-line block ×3, first 2 shown]
	v_fma_f64 v[144:145], v[62:63], v[132:133], v[232:233]
	v_fma_f64 v[62:63], v[200:201], v[108:109], v[110:111]
	v_fma_f64 v[108:109], v[34:35], v[122:123], -v[222:223]
	v_fma_f64 v[114:115], v[20:21], v[166:167], -v[224:225]
	v_mul_f64 v[172:173], v[22:23], v[172:173]
	v_fma_f64 v[80:81], v[66:67], v[116:117], v[80:81]
	v_fma_f64 v[116:117], v[198:199], v[102:103], v[104:105]
	v_fma_f64 v[102:103], v[22:23], v[170:171], -v[226:227]
	v_fma_f64 v[110:111], v[28:29], v[180:181], -v[50:51]
	;; [unrolled: 1-line block ×4, first 2 shown]
	v_fma_f64 v[140:141], v[140:141], v[52:53], v[54:55]
	v_add_f64 v[28:29], v[134:135], v[118:119]
	v_add_f64 v[32:33], v[120:121], v[126:127]
	;; [unrolled: 1-line block ×3, first 2 shown]
	v_fma_f64 v[22:23], v[202:203], v[122:123], v[124:125]
	v_fma_f64 v[132:133], v[204:205], v[166:167], v[168:169]
	;; [unrolled: 1-line block ×4, first 2 shown]
	v_add_f64 v[24:25], v[142:143], v[130:131]
	v_add_f64 v[40:41], v[98:99], v[112:113]
	;; [unrolled: 1-line block ×3, first 2 shown]
	v_fma_f64 v[20:21], v[210:211], v[184:185], v[182:183]
	v_add_f64 v[30:31], v[8:9], v[142:143]
	v_add_f64 v[34:35], v[144:145], -v[82:83]
	v_add_f64 v[44:45], v[114:115], v[108:109]
	v_fma_f64 v[122:123], v[206:207], v[170:171], v[172:173]
	v_add_f64 v[58:59], v[12:13], v[98:99]
	v_add_f64 v[38:39], v[10:11], v[134:135]
	;; [unrolled: 1-line block ×6, first 2 shown]
	v_add_f64 v[42:43], v[140:141], -v[84:85]
	v_fma_f64 v[10:11], v[28:29], -0.5, v[10:11]
	v_add_f64 v[50:51], v[136:137], -v[88:89]
	v_add_f64 v[54:55], v[18:19], v[128:129]
	v_add_f64 v[66:67], v[4:5], v[102:103]
	v_fma_f64 v[16:17], v[32:33], -0.5, v[16:17]
	v_add_f64 v[56:57], v[138:139], -v[86:87]
	v_fma_f64 v[18:19], v[36:37], -0.5, v[18:19]
	v_fma_f64 v[8:9], v[24:25], -0.5, v[8:9]
	v_add_f64 v[24:25], v[116:117], -v[62:63]
	v_fma_f64 v[12:13], v[40:41], -0.5, v[12:13]
	v_add_f64 v[166:167], v[6:7], v[104:105]
	v_add_f64 v[28:29], v[132:133], -v[22:23]
	v_fma_f64 v[40:41], v[2:3], -0.5, v[0:1]
	v_fma_f64 v[2:3], v[44:45], -0.5, v[14:15]
	v_add_f64 v[168:169], v[0:1], v[92:93]
	v_add_f64 v[32:33], v[122:123], -v[90:91]
	v_add_f64 v[36:37], v[124:125], -v[20:21]
	;; [unrolled: 1-line block ×3, first 2 shown]
	v_fma_f64 v[4:5], v[48:49], -0.5, v[4:5]
	v_add_f64 v[30:31], v[30:31], v[130:131]
	v_fma_f64 v[14:15], v[52:53], -0.5, v[6:7]
	v_add_f64 v[48:49], v[58:59], v[112:113]
	v_add_f64 v[38:39], v[38:39], v[118:119]
	;; [unrolled: 1-line block ×3, first 2 shown]
	v_fma_f64 v[64:65], v[42:43], s[4:5], v[10:11]
	v_fma_f64 v[42:43], v[42:43], s[6:7], v[10:11]
	v_add_f64 v[44:45], v[46:47], v[126:127]
	v_add_f64 v[46:47], v[54:55], v[106:107]
	;; [unrolled: 1-line block ×3, first 2 shown]
	v_fma_f64 v[58:59], v[34:35], s[4:5], v[8:9]
	v_fma_f64 v[34:35], v[34:35], s[6:7], v[8:9]
	;; [unrolled: 1-line block ×8, first 2 shown]
	v_add_f64 v[0:1], v[166:167], v[100:101]
	v_fma_f64 v[166:167], v[28:29], s[4:5], v[2:3]
	v_fma_f64 v[28:29], v[28:29], s[6:7], v[2:3]
	v_add_f64 v[6:7], v[168:169], v[94:95]
	v_fma_f64 v[168:169], v[32:33], s[4:5], v[4:5]
	v_fma_f64 v[32:33], v[32:33], s[6:7], v[4:5]
	v_fma_f64 v[2:3], v[36:37], s[4:5], v[14:15]
	v_fma_f64 v[4:5], v[36:37], s[6:7], v[14:15]
	v_fma_f64 v[8:9], v[26:27], s[4:5], v[40:41]
	v_fma_f64 v[10:11], v[26:27], s[6:7], v[40:41]
	ds_read2_b64 v[12:15], v154 offset0:122 offset1:185
	s_waitcnt lgkmcnt(0)
	s_barrier
	buffer_gl0_inv
	ds_write2_b64 v147, v[30:31], v[58:59] offset1:81
	ds_write_b64 v147, v[34:35] offset:1296
	ds_write2_b64 v156, v[38:39], v[64:65] offset1:81
	ds_write_b64 v156, v[42:43] offset:1296
	;; [unrolled: 2-line block ×4, first 2 shown]
	ds_write2_b64 v163, v[48:49], v[56:57] offset0:89 offset1:170
	ds_write_b64 v161, v[24:25] offset:7128
	ds_write2_b64 v158, v[52:53], v[166:167] offset1:81
	ds_write_b64 v158, v[28:29] offset:1296
	ds_write2_b64 v159, v[54:55], v[168:169] offset1:81
	;; [unrolled: 2-line block ×3, first 2 shown]
	ds_write_b64 v157, v[4:5] offset:1296
	ds_write2_b64 v165, v[6:7], v[8:9] offset0:50 offset1:131
	ds_write_b64 v160, v[10:11] offset:12960
	s_waitcnt lgkmcnt(0)
	s_barrier
	buffer_gl0_inv
	ds_read_b64 v[184:185], v147 offset:12672
	ds_read2_b64 v[24:27], v147 offset1:63
	ds_read2_b64 v[28:31], v147 offset0:126 offset1:243
	ds_read2_b64 v[32:35], v149 offset0:102 offset1:165
	;; [unrolled: 1-line block ×9, first 2 shown]
                                        ; implicit-def: $vgpr180_vgpr181
	s_and_saveexec_b32 s1, s0
	s_cbranch_execz .LBB0_15
; %bb.14:
	v_add_nc_u32_e32 v0, 0x5c0, v147
	v_add_nc_u32_e32 v4, 0x1500, v147
	ds_read2_b64 v[8:11], v151 offset0:9 offset1:252
	ds_read2_b64 v[0:3], v0 offset0:5 offset1:248
	;; [unrolled: 1-line block ×3, first 2 shown]
	ds_read_b64 v[180:181], v147 offset:13176
.LBB0_15:
	s_or_b32 exec_lo, exec_lo, s1
	v_add_f64 v[16:17], v[144:145], v[82:83]
	v_add_f64 v[18:19], v[140:141], v[84:85]
	;; [unrolled: 1-line block ×5, first 2 shown]
	v_add_f64 v[130:131], v[142:143], -v[130:131]
	v_add_f64 v[142:143], v[132:133], v[22:23]
	v_add_f64 v[118:119], v[134:135], -v[118:119]
	v_add_f64 v[134:135], v[72:73], v[136:137]
	v_add_f64 v[136:137], v[122:123], v[90:91]
	v_add_f64 v[120:121], v[120:121], -v[126:127]
	v_add_f64 v[126:127], v[74:75], v[138:139]
	v_add_f64 v[138:139], v[124:125], v[20:21]
	v_add_f64 v[106:107], v[128:129], -v[106:107]
	v_add_f64 v[128:129], v[96:97], v[80:81]
	v_add_f64 v[144:145], v[76:77], v[144:145]
	v_add_f64 v[140:141], v[78:79], v[140:141]
	v_add_f64 v[108:109], v[114:115], -v[108:109]
	v_add_f64 v[102:103], v[102:103], -v[110:111]
	v_add_f64 v[110:111], v[14:15], v[124:125]
	v_add_f64 v[100:101], v[104:105], -v[100:101]
	v_add_f64 v[92:93], v[92:93], -v[94:95]
	v_fma_f64 v[16:17], v[16:17], -0.5, v[76:77]
	v_fma_f64 v[18:19], v[18:19], -0.5, v[78:79]
	;; [unrolled: 1-line block ×4, first 2 shown]
	v_add_f64 v[76:77], v[68:69], v[116:117]
	v_add_f64 v[78:79], v[98:99], -v[112:113]
	v_fma_f64 v[68:69], v[170:171], -0.5, v[68:69]
	v_add_f64 v[98:99], v[70:71], v[132:133]
	v_fma_f64 v[70:71], v[142:143], -0.5, v[70:71]
	v_add_f64 v[112:113], v[12:13], v[122:123]
	;; [unrolled: 2-line block ×5, first 2 shown]
	v_add_f64 v[84:85], v[140:141], v[84:85]
	v_add_f64 v[86:87], v[126:127], v[86:87]
	s_waitcnt lgkmcnt(0)
	s_barrier
	buffer_gl0_inv
                                        ; implicit-def: $vgpr182_vgpr183
	v_fma_f64 v[104:105], v[130:131], s[6:7], v[16:17]
	v_fma_f64 v[114:115], v[130:131], s[4:5], v[16:17]
	;; [unrolled: 1-line block ×8, first 2 shown]
	v_add_f64 v[62:63], v[76:77], v[62:63]
	v_fma_f64 v[76:77], v[78:79], s[6:7], v[68:69]
	v_fma_f64 v[68:69], v[78:79], s[4:5], v[68:69]
	v_add_f64 v[78:79], v[98:99], v[22:23]
	v_fma_f64 v[98:99], v[108:109], s[6:7], v[70:71]
	v_fma_f64 v[70:71], v[108:109], s[4:5], v[70:71]
	;; [unrolled: 3-line block ×5, first 2 shown]
	ds_write2_b64 v147, v[82:83], v[104:105] offset1:81
	ds_write_b64 v147, v[114:115] offset:1296
	ds_write2_b64 v156, v[84:85], v[116:117] offset1:81
	ds_write_b64 v156, v[118:119] offset:1296
	;; [unrolled: 2-line block ×4, first 2 shown]
	ds_write2_b64 v163, v[62:63], v[76:77] offset0:89 offset1:170
	ds_write_b64 v161, v[68:69] offset:7128
	ds_write2_b64 v158, v[78:79], v[98:99] offset1:81
	ds_write_b64 v158, v[70:71] offset:1296
	ds_write2_b64 v159, v[90:91], v[106:107] offset1:81
	;; [unrolled: 2-line block ×3, first 2 shown]
	ds_write_b64 v157, v[16:17] offset:1296
	ds_write2_b64 v165, v[18:19], v[20:21] offset0:50 offset1:131
	ds_write_b64 v160, v[22:23] offset:12960
	s_waitcnt lgkmcnt(0)
	s_barrier
	buffer_gl0_inv
	ds_read2_b64 v[60:63], v147 offset1:63
	ds_read2_b64 v[68:71], v147 offset0:126 offset1:243
	ds_read2_b64 v[72:75], v149 offset0:102 offset1:165
	;; [unrolled: 1-line block ×9, first 2 shown]
	ds_read_b64 v[188:189], v147 offset:12672
	s_and_saveexec_b32 s1, s0
	s_cbranch_execz .LBB0_17
; %bb.16:
	v_add_nc_u32_e32 v12, 0x5c0, v147
	v_add_nc_u32_e32 v16, 0x1500, v147
	;; [unrolled: 1-line block ×3, first 2 shown]
	ds_read2_b64 v[12:15], v12 offset0:5 offset1:248
	ds_read2_b64 v[16:19], v16 offset0:3 offset1:246
	;; [unrolled: 1-line block ×3, first 2 shown]
	ds_read_b64 v[182:183], v147 offset:13176
.LBB0_17:
	s_or_b32 exec_lo, exec_lo, s1
	s_and_saveexec_b32 s1, vcc_lo
	s_cbranch_execz .LBB0_20
; %bb.18:
	v_mul_u32_u24_e32 v104, 6, v146
	v_mul_u32_u24_e32 v105, 6, v220
	v_mov_b32_e32 v187, 0
	v_mad_u32_u24 v186, v146, 6, 0xfffffe86
	s_mov_b32 s12, 0xe976ee23
	v_lshlrev_b32_e32 v104, 4, v104
	v_lshlrev_b32_e32 v105, 4, v105
	s_mov_b32 s13, 0xbfe11646
	v_lshlrev_b64 v[136:137], 4, v[186:187]
	s_mov_b32 s16, 0x37e14327
	v_add_co_u32 v104, s1, s8, v104
	v_add_co_ci_u32_e64 v106, null, s9, 0, s1
	v_add_co_u32 v118, s1, s8, v105
	v_add_co_ci_u32_e64 v119, null, s9, 0, s1
	v_add_co_u32 v116, vcc_lo, 0xf00, v104
	v_add_co_ci_u32_e32 v117, vcc_lo, 0, v106, vcc_lo
	v_add_co_u32 v132, vcc_lo, 0x800, v118
	v_add_co_ci_u32_e32 v133, vcc_lo, 0, v119, vcc_lo
	;; [unrolled: 2-line block ×6, first 2 shown]
	s_clause 0x9
	global_load_dwordx4 v[128:131], v[116:117], off offset:48
	global_load_dwordx4 v[104:107], v[110:111], off offset:1792
	;; [unrolled: 1-line block ×10, first 2 shown]
	v_add_co_u32 v146, vcc_lo, s8, v136
	v_add_co_ci_u32_e32 v147, vcc_lo, s9, v137, vcc_lo
	s_clause 0x1
	global_load_dwordx4 v[136:139], v[132:133], off offset:1792
	global_load_dwordx4 v[132:135], v[134:135], off offset:48
	v_add_co_u32 v144, vcc_lo, 0xf40, v146
	v_add_co_ci_u32_e32 v145, vcc_lo, 0, v147, vcc_lo
	v_add_co_u32 v168, vcc_lo, 0x800, v146
	v_add_co_ci_u32_e32 v169, vcc_lo, 0, v147, vcc_lo
	;; [unrolled: 2-line block ×3, first 2 shown]
	s_clause 0x5
	global_load_dwordx4 v[148:151], v[144:145], off offset:16
	global_load_dwordx4 v[144:147], v[168:169], off offset:1792
	;; [unrolled: 1-line block ×6, first 2 shown]
	s_mov_b32 s10, 0x36b3c0b5
	s_mov_b32 s17, 0x3fe948f6
	;; [unrolled: 1-line block ×3, first 2 shown]
	v_mul_lo_u32 v186, s3, v178
	v_mul_lo_u32 v190, s2, v179
	v_mad_u64_u32 v[178:179], null, s2, v178, 0
	v_mul_hi_u32 v191, 0x86d90545, v220
	v_add_nc_u32_e32 v192, 63, v220
	v_add_nc_u32_e32 v193, 0x7e, v220
	s_mov_b32 s6, 0xb247c609
	s_mov_b32 s24, 0x429ad128
	;; [unrolled: 1-line block ×3, first 2 shown]
	v_mul_hi_u32 v194, 0x86d90545, v192
	v_mul_hi_u32 v195, 0x86d90545, v193
	v_add3_u32 v179, v179, v190, v186
	v_lshrrev_b32_e32 v186, 7, v191
	s_mov_b32 s25, 0x3febfeb5
	s_mov_b32 s22, 0x5476071b
	;; [unrolled: 1-line block ×3, first 2 shown]
	v_lshlrev_b64 v[178:179], 4, v[178:179]
	v_lshrrev_b32_e32 v190, 7, v194
	v_mul_lo_u32 v186, 0xf3, v186
	v_lshrrev_b32_e32 v191, 7, v195
	v_lshlrev_b64 v[176:177], 4, v[176:177]
	s_mov_b32 s4, 0xaaaaaaaa
	v_mul_lo_u32 v194, 0xf3, v190
	v_add_co_u32 v196, vcc_lo, s14, v178
	v_mul_lo_u32 v195, 0xf3, v191
	v_add_co_ci_u32_e32 v179, vcc_lo, s15, v179, vcc_lo
	v_sub_nc_u32_e32 v186, v220, v186
	v_add_co_u32 v222, vcc_lo, v196, v176
	v_sub_nc_u32_e32 v178, v192, v194
	v_add_co_ci_u32_e32 v223, vcc_lo, v179, v177, vcc_lo
	v_lshlrev_b32_e32 v179, 4, v186
	v_sub_nc_u32_e32 v176, v193, v195
	s_mov_b32 s5, 0xbff2aaaa
	s_mov_b32 s21, 0xbfd5d0dc
	;; [unrolled: 1-line block ×5, first 2 shown]
	v_mad_u64_u32 v[210:211], null, 0x6a5, v190, v[178:179]
	v_add_co_u32 v190, vcc_lo, v222, v179
	v_mad_u64_u32 v[176:177], null, 0x6a5, v191, v[176:177]
	v_add_co_ci_u32_e32 v191, vcc_lo, 0, v223, vcc_lo
	s_mov_b32 s2, 0x37c3f68c
	s_mov_b32 s3, 0x3fdc38aa
	v_add_co_u32 v178, vcc_lo, 0x800, v190
	v_add_co_ci_u32_e32 v179, vcc_lo, 0, v191, vcc_lo
	v_add_co_u32 v192, vcc_lo, 0x1800, v190
	v_add_co_ci_u32_e32 v193, vcc_lo, 0, v191, vcc_lo
	v_add_co_u32 v194, vcc_lo, 0x2800, v190
	v_mov_b32_e32 v211, v187
	v_add_nc_u32_e32 v186, 0xf3, v210
	v_add_co_ci_u32_e32 v195, vcc_lo, 0, v191, vcc_lo
	v_add_co_u32 v196, vcc_lo, 0x3800, v190
	v_mov_b32_e32 v177, v187
	v_add_co_ci_u32_e32 v197, vcc_lo, 0, v191, vcc_lo
	v_add_co_u32 v198, vcc_lo, 0x4800, v190
	v_lshlrev_b64 v[200:201], 4, v[210:211]
	v_lshlrev_b64 v[208:209], 4, v[186:187]
	v_add_nc_u32_e32 v186, 0x1e6, v210
	v_add_co_ci_u32_e32 v199, vcc_lo, 0, v191, vcc_lo
	v_add_co_u32 v202, vcc_lo, 0x5800, v190
	v_lshlrev_b64 v[206:207], 4, v[176:177]
	v_add_co_ci_u32_e32 v203, vcc_lo, 0, v191, vcc_lo
	v_lshlrev_b64 v[211:212], 4, v[186:187]
	v_add_nc_u32_e32 v186, 0x2d9, v210
	v_add_co_u32 v204, vcc_lo, v222, v200
	v_add_co_ci_u32_e32 v205, vcc_lo, v223, v201, vcc_lo
	v_add_co_u32 v200, vcc_lo, v222, v206
	v_lshlrev_b64 v[213:214], 4, v[186:187]
	v_add_nc_u32_e32 v186, 0x3cc, v210
	v_add_co_ci_u32_e32 v201, vcc_lo, v223, v207, vcc_lo
	v_add_co_u32 v206, vcc_lo, v222, v208
	v_add_co_ci_u32_e32 v207, vcc_lo, v223, v209, vcc_lo
	v_add_co_u32 v208, vcc_lo, v222, v211
	v_lshlrev_b64 v[216:217], 4, v[186:187]
	v_add_nc_u32_e32 v186, 0x4bf, v210
	v_add_co_ci_u32_e32 v209, vcc_lo, v223, v212, vcc_lo
	v_add_co_u32 v212, vcc_lo, v222, v213
	v_add_co_ci_u32_e32 v213, vcc_lo, v223, v214, vcc_lo
	v_lshlrev_b64 v[214:215], 4, v[186:187]
	v_add_nc_u32_e32 v186, 0x5b2, v210
	v_add_co_u32 v216, vcc_lo, v222, v216
	v_add_co_ci_u32_e32 v217, vcc_lo, v223, v217, vcc_lo
	v_lshlrev_b64 v[210:211], 4, v[186:187]
	v_add_nc_u32_e32 v186, 0xf3, v176
	;; [unrolled: 4-line block ×5, first 2 shown]
	v_add_co_u32 v224, vcc_lo, v222, v224
	v_add_co_ci_u32_e32 v225, vcc_lo, v223, v225, vcc_lo
	s_waitcnt vmcnt(17) lgkmcnt(5)
	v_mul_f64 v[228:229], v[100:101], v[130:131]
	v_mul_f64 v[130:131], v[64:65], v[130:131]
	s_waitcnt vmcnt(11)
	v_mul_f64 v[230:231], v[102:103], v[174:175]
	v_mul_f64 v[174:175], v[66:67], v[174:175]
	;; [unrolled: 1-line block ×4, first 2 shown]
	s_waitcnt vmcnt(9)
	v_mul_f64 v[234:235], v[98:99], v[166:167]
	s_waitcnt lgkmcnt(0)
	v_mul_f64 v[236:237], v[188:189], v[114:115]
	v_mul_f64 v[114:115], v[184:185], v[114:115]
	;; [unrolled: 1-line block ×10, first 2 shown]
	s_waitcnt vmcnt(7)
	v_mul_f64 v[246:247], v[70:71], v[138:139]
	v_mul_f64 v[138:139], v[30:31], v[138:139]
	;; [unrolled: 1-line block ×4, first 2 shown]
	s_waitcnt vmcnt(6)
	v_mul_f64 v[250:251], v[76:77], v[134:135]
	v_mul_f64 v[166:167], v[58:59], v[166:167]
	;; [unrolled: 1-line block ×3, first 2 shown]
	s_waitcnt vmcnt(5)
	v_mul_f64 v[252:253], v[90:91], v[150:151]
	s_waitcnt vmcnt(4)
	v_mul_f64 v[254:255], v[84:85], v[146:147]
	v_fma_f64 v[64:65], v[64:65], v[128:129], -v[228:229]
	v_fma_f64 v[100:101], v[100:101], v[128:129], v[130:131]
	s_waitcnt vmcnt(3)
	v_mul_f64 v[128:129], v[74:75], v[162:163]
	s_waitcnt vmcnt(2)
	v_mul_f64 v[130:131], v[80:81], v[158:159]
	v_fma_f64 v[66:67], v[66:67], v[172:173], -v[230:231]
	s_waitcnt vmcnt(1)
	v_mul_f64 v[228:229], v[78:79], v[154:155]
	v_mul_f64 v[150:151], v[54:55], v[150:151]
	v_fma_f64 v[102:103], v[102:103], v[172:173], v[174:175]
	v_mul_f64 v[146:147], v[48:49], v[146:147]
	s_waitcnt vmcnt(0)
	v_mul_f64 v[172:173], v[92:93], v[170:171]
	v_mul_f64 v[162:163], v[34:35], v[162:163]
	v_fma_f64 v[56:57], v[56:57], v[140:141], -v[232:233]
	v_fma_f64 v[96:97], v[96:97], v[140:141], v[142:143]
	v_mul_f64 v[140:141], v[40:41], v[170:171]
	v_mul_f64 v[158:159], v[44:45], v[158:159]
	v_mul_f64 v[142:143], v[38:39], v[154:155]
	v_fma_f64 v[58:59], v[58:59], v[164:165], -v[234:235]
	v_fma_f64 v[154:155], v[184:185], v[112:113], -v[236:237]
	v_fma_f64 v[112:113], v[188:189], v[112:113], v[114:115]
	v_fma_f64 v[50:51], v[50:51], v[104:105], -v[238:239]
	v_fma_f64 v[86:87], v[86:87], v[104:105], v[106:107]
	;; [unrolled: 2-line block ×8, first 2 shown]
	v_fma_f64 v[76:77], v[76:77], v[132:133], v[134:135]
	v_fma_f64 v[54:55], v[54:55], v[148:149], -v[252:253]
	v_fma_f64 v[48:49], v[48:49], v[144:145], -v[254:255]
	v_fma_f64 v[34:35], v[34:35], v[160:161], -v[128:129]
	v_fma_f64 v[44:45], v[44:45], v[156:157], -v[130:131]
	v_fma_f64 v[38:39], v[38:39], v[152:153], -v[228:229]
	v_fma_f64 v[40:41], v[40:41], v[168:169], -v[172:173]
	v_fma_f64 v[90:91], v[90:91], v[148:149], v[150:151]
	v_fma_f64 v[84:85], v[84:85], v[144:145], v[146:147]
	;; [unrolled: 1-line block ×6, first 2 shown]
	v_add_f64 v[104:105], v[50:51], -v[154:155]
	v_add_f64 v[106:107], v[64:65], -v[46:47]
	v_add_f64 v[108:109], v[56:57], -v[42:43]
	v_add_f64 v[110:111], v[86:87], v[112:113]
	v_add_f64 v[114:115], v[96:97], v[94:95]
	v_add_f64 v[116:117], v[100:101], v[82:83]
	v_add_f64 v[50:51], v[50:51], v[154:155]
	v_add_f64 v[42:43], v[56:57], v[42:43]
	v_add_f64 v[46:47], v[64:65], v[46:47]
	v_add_f64 v[56:57], v[86:87], -v[112:113]
	v_add_f64 v[64:65], v[100:101], -v[82:83]
	v_add_f64 v[82:83], v[96:97], -v[94:95]
	v_add_f64 v[86:87], v[30:31], -v[52:53]
	v_add_f64 v[94:95], v[36:37], -v[58:59]
	v_add_f64 v[96:97], v[32:33], -v[66:67]
	v_add_f64 v[100:101], v[70:71], v[88:89]
	v_add_f64 v[112:113], v[72:73], v[102:103]
	v_add_f64 v[30:31], v[30:31], v[52:53]
	v_add_f64 v[32:33], v[32:33], v[66:67]
	v_add_f64 v[118:119], v[76:77], v[98:99]
	v_add_f64 v[36:37], v[36:37], v[58:59]
	v_add_f64 v[52:53], v[70:71], -v[88:89]
	v_add_f64 v[58:59], v[76:77], -v[98:99]
	v_add_f64 v[66:67], v[72:73], -v[102:103]
	;; [unrolled: 12-line block ×3, first 2 shown]
	v_add_f64 v[74:75], v[104:105], -v[106:107]
	v_add_f64 v[78:79], v[106:107], -v[108:109]
	v_add_f64 v[80:81], v[106:107], v[108:109]
	v_add_f64 v[84:85], v[110:111], v[114:115]
	v_add_f64 v[90:91], v[110:111], -v[116:117]
	v_add_f64 v[92:93], v[116:117], -v[114:115]
	v_add_f64 v[106:107], v[50:51], v[42:43]
	v_add_f64 v[120:121], v[50:51], -v[46:47]
	v_add_f64 v[122:123], v[46:47], -v[42:43]
	;; [unrolled: 1-line block ×4, first 2 shown]
	v_add_f64 v[64:65], v[64:65], v[82:83]
	v_add_f64 v[110:111], v[114:115], -v[110:111]
	v_add_f64 v[42:43], v[42:43], -v[50:51]
	;; [unrolled: 1-line block ×5, first 2 shown]
	v_add_f64 v[94:95], v[94:95], v[96:97]
	v_add_f64 v[128:129], v[100:101], v[112:113]
	;; [unrolled: 1-line block ×3, first 2 shown]
	v_add_f64 v[130:131], v[100:101], -v[118:119]
	v_add_f64 v[132:133], v[118:119], -v[112:113]
	;; [unrolled: 1-line block ×8, first 2 shown]
	v_add_f64 v[32:33], v[72:73], v[76:77]
	v_add_f64 v[72:73], v[88:89], v[98:99]
	;; [unrolled: 1-line block ×3, first 2 shown]
	v_add_f64 v[108:109], v[108:109], -v[104:105]
	v_add_f64 v[140:141], v[52:53], -v[58:59]
	;; [unrolled: 1-line block ×3, first 2 shown]
	v_add_f64 v[58:59], v[58:59], v[66:67]
	v_add_f64 v[96:97], v[96:97], -v[86:87]
	v_add_f64 v[146:147], v[88:89], -v[102:103]
	;; [unrolled: 1-line block ×8, first 2 shown]
	v_mul_f64 v[34:35], v[78:79], s[12:13]
	v_add_f64 v[78:79], v[104:105], v[80:81]
	v_add_f64 v[80:81], v[116:117], v[84:85]
	;; [unrolled: 1-line block ×5, first 2 shown]
	v_add_f64 v[66:67], v[66:67], -v[52:53]
	v_add_f64 v[46:47], v[46:47], v[106:107]
	v_mul_f64 v[92:93], v[92:93], s[10:11]
	v_mul_f64 v[106:107], v[122:123], s[10:11]
	;; [unrolled: 1-line block ×4, first 2 shown]
	v_add_f64 v[72:73], v[102:103], v[72:73]
	v_add_f64 v[150:151], v[38:39], v[150:151]
	v_add_f64 v[156:157], v[40:41], -v[44:45]
	v_add_f64 v[44:45], v[44:45], v[54:55]
	v_add_f64 v[76:77], v[76:77], -v[70:71]
	v_add_f64 v[54:55], v[54:55], -v[40:41]
	v_mul_f64 v[84:85], v[90:91], s[16:17]
	v_mul_f64 v[104:105], v[120:121], s[16:17]
	v_add_f64 v[56:57], v[56:57], v[64:65]
	v_mul_f64 v[64:65], v[108:109], s[24:25]
	v_mul_f64 v[122:123], v[50:51], s[24:25]
	;; [unrolled: 1-line block ×6, first 2 shown]
	v_add_f64 v[52:53], v[52:53], v[58:59]
	v_mul_f64 v[58:59], v[96:97], s[24:25]
	v_mul_f64 v[142:143], v[30:31], s[12:13]
	v_add_f64 v[70:71], v[70:71], v[32:33]
	v_mul_f64 v[98:99], v[98:99], s[12:13]
	v_fma_f64 v[162:163], v[74:75], s[6:7], v[34:35]
	v_add_f64 v[30:31], v[68:69], v[80:81]
	v_fma_f64 v[108:109], v[108:109], s[24:25], -v[34:35]
	v_add_f64 v[34:35], v[60:61], v[94:95]
	v_add_f64 v[32:33], v[24:25], v[128:129]
	v_mul_f64 v[118:119], v[130:131], s[16:17]
	v_mul_f64 v[138:139], v[66:67], s[24:25]
	v_add_f64 v[28:29], v[28:29], v[46:47]
	v_mul_f64 v[102:103], v[146:147], s[16:17]
	v_mul_f64 v[148:149], v[148:149], s[10:11]
	;; [unrolled: 1-line block ×3, first 2 shown]
	v_fma_f64 v[68:69], v[90:91], s[16:17], v[92:93]
	v_fma_f64 v[90:91], v[120:121], s[16:17], v[106:107]
	;; [unrolled: 1-line block ×3, first 2 shown]
	v_fma_f64 v[50:51], v[50:51], s[24:25], -v[116:117]
	v_fma_f64 v[116:117], v[112:113], s[22:23], -v[36:37]
	v_add_f64 v[38:39], v[62:63], v[72:73]
	v_add_f64 v[36:37], v[26:27], v[150:151]
	;; [unrolled: 1-line block ×3, first 2 shown]
	v_mul_f64 v[44:45], v[76:77], s[24:25]
	v_mul_f64 v[158:159], v[152:153], s[16:17]
	;; [unrolled: 1-line block ×3, first 2 shown]
	v_fma_f64 v[64:65], v[74:75], s[20:21], -v[64:65]
	v_fma_f64 v[74:75], v[110:111], s[22:23], -v[84:85]
	;; [unrolled: 1-line block ×6, first 2 shown]
	v_fma_f64 v[106:107], v[82:83], s[6:7], v[114:115]
	v_fma_f64 v[60:61], v[130:131], s[16:17], v[126:127]
	;; [unrolled: 1-line block ×4, first 2 shown]
	v_fma_f64 v[58:59], v[82:83], s[20:21], -v[58:59]
	v_fma_f64 v[96:97], v[96:97], s[24:25], -v[114:115]
	v_fma_f64 v[114:115], v[144:145], s[6:7], v[142:143]
	v_fma_f64 v[122:123], v[156:157], s[6:7], v[98:99]
	;; [unrolled: 1-line block ×3, first 2 shown]
	v_fma_f64 v[54:55], v[54:55], s[24:25], -v[98:99]
	v_fma_f64 v[94:95], v[94:95], s[4:5], v[34:35]
	v_fma_f64 v[98:99], v[128:129], s[4:5], v[32:33]
	v_fma_f64 v[82:83], v[100:101], s[22:23], -v[118:119]
	v_fma_f64 v[118:119], v[140:141], s[20:21], -v[138:139]
	v_fma_f64 v[66:67], v[66:67], s[24:25], -v[134:135]
	v_fma_f64 v[100:101], v[100:101], s[18:19], -v[126:127]
	v_fma_f64 v[112:113], v[112:113], s[18:19], -v[132:133]
	v_fma_f64 v[46:47], v[46:47], s[4:5], v[28:29]
	v_fma_f64 v[62:63], v[146:147], s[16:17], v[148:149]
	;; [unrolled: 1-line block ×3, first 2 shown]
	v_fma_f64 v[102:103], v[88:89], s[22:23], -v[102:103]
	v_fma_f64 v[88:89], v[88:89], s[18:19], -v[148:149]
	v_fma_f64 v[130:131], v[56:57], s[2:3], v[50:51]
	v_fma_f64 v[50:51], v[72:73], s[4:5], v[38:39]
	global_store_dwordx4 v[190:191], v[32:35], off
	v_fma_f64 v[32:33], v[150:151], s[4:5], v[36:37]
	v_fma_f64 v[44:45], v[144:145], s[20:21], -v[44:45]
	v_fma_f64 v[76:77], v[76:77], s[24:25], -v[142:143]
	;; [unrolled: 1-line block ×5, first 2 shown]
	v_fma_f64 v[128:129], v[78:79], s[2:3], v[162:163]
	v_fma_f64 v[120:121], v[56:57], s[2:3], v[120:121]
	;; [unrolled: 1-line block ×10, first 2 shown]
	v_add_f64 v[114:115], v[68:69], v[80:81]
	v_add_f64 v[60:61], v[60:61], v[94:95]
	;; [unrolled: 1-line block ×3, first 2 shown]
	v_fma_f64 v[106:107], v[52:53], s[2:3], v[118:119]
	v_fma_f64 v[52:53], v[52:53], s[2:3], v[66:67]
	v_add_f64 v[66:67], v[74:75], v[80:81]
	v_add_f64 v[72:73], v[82:83], v[94:95]
	;; [unrolled: 1-line block ×6, first 2 shown]
	v_fma_f64 v[110:111], v[40:41], s[2:3], v[122:123]
	v_add_f64 v[100:101], v[84:85], v[46:47]
	v_add_f64 v[112:113], v[92:93], v[80:81]
	;; [unrolled: 1-line block ×5, first 2 shown]
	v_fma_f64 v[94:95], v[70:71], s[2:3], v[44:45]
	v_fma_f64 v[76:77], v[70:71], s[2:3], v[76:77]
	v_add_f64 v[80:81], v[102:103], v[50:51]
	v_fma_f64 v[98:99], v[40:41], s[2:3], v[126:127]
	v_add_f64 v[102:103], v[124:125], v[32:33]
	;; [unrolled: 2-line block ×3, first 2 shown]
	v_add_f64 v[26:27], v[56:57], v[60:61]
	v_add_f64 v[62:63], v[60:61], -v[56:57]
	v_add_f64 v[60:61], v[78:79], v[68:69]
	v_add_f64 v[116:117], v[42:43], v[46:47]
	;; [unrolled: 1-line block ×3, first 2 shown]
	v_add_f64 v[58:59], v[72:73], -v[58:59]
	v_add_f64 v[56:57], v[106:107], v[74:75]
	v_add_f64 v[54:55], v[86:87], v[82:83]
	;; [unrolled: 1-line block ×3, first 2 shown]
	v_add_f64 v[52:53], v[90:91], -v[52:53]
	v_add_f64 v[50:51], v[82:83], -v[86:87]
	;; [unrolled: 1-line block ×5, first 2 shown]
	v_add_f64 v[90:91], v[96:97], v[88:89]
	v_add_f64 v[88:89], v[92:93], -v[110:111]
	v_add_f64 v[74:75], v[84:85], -v[76:77]
	v_add_f64 v[70:71], v[94:95], v[80:81]
	v_add_f64 v[78:79], v[76:77], v[84:85]
	v_add_f64 v[82:83], v[80:81], -v[94:95]
	v_add_f64 v[84:85], v[110:111], v[92:93]
	v_add_f64 v[94:95], v[114:115], -v[128:129]
	v_add_f64 v[92:93], v[120:121], v[118:119]
	v_add_f64 v[42:43], v[64:65], v[66:67]
	v_add_f64 v[66:67], v[66:67], -v[64:65]
	v_add_f64 v[80:81], v[98:99], v[102:103]
	;; [unrolled: 3-line block ×3, first 2 shown]
	v_add_f64 v[68:69], v[102:103], -v[98:99]
	global_store_dwordx4 v[178:179], v[60:63], off offset:1840
	global_store_dwordx4 v[192:193], v[56:59], off offset:1632
	;; [unrolled: 1-line block ×6, first 2 shown]
	global_store_dwordx4 v[204:205], v[36:39], off
	global_store_dwordx4 v[206:207], v[84:87], off
	;; [unrolled: 1-line block ×6, first 2 shown]
	v_lshlrev_b64 v[24:25], 4, v[186:187]
	v_add_nc_u32_e32 v186, 0x4bf, v176
	v_add_f64 v[40:41], v[100:101], -v[104:105]
	v_add_f64 v[102:103], v[108:109], v[112:113]
	v_add_f64 v[100:101], v[116:117], -v[130:131]
	v_add_f64 v[98:99], v[112:113], -v[108:109]
	v_add_f64 v[96:97], v[130:131], v[116:117]
	v_add_f64 v[34:35], v[128:129], v[114:115]
	v_add_f64 v[32:33], v[118:119], -v[120:121]
	global_store_dwordx4 v[210:211], v[88:91], off
	global_store_dwordx4 v[200:201], v[28:31], off
	;; [unrolled: 1-line block ×4, first 2 shown]
	v_lshlrev_b64 v[28:29], 4, v[186:187]
	v_add_nc_u32_e32 v186, 0x5b2, v176
	v_add_co_u32 v26, vcc_lo, v222, v226
	v_add_co_ci_u32_e32 v27, vcc_lo, v223, v227, vcc_lo
	v_add_co_u32 v30, vcc_lo, v222, v24
	v_lshlrev_b64 v[36:37], 4, v[186:187]
	v_add_co_ci_u32_e32 v31, vcc_lo, v223, v25, vcc_lo
	v_add_co_u32 v28, vcc_lo, v222, v28
	v_add_nc_u32_e32 v24, 0xbd, v220
	v_add_co_ci_u32_e32 v29, vcc_lo, v223, v29, vcc_lo
	v_add_co_u32 v36, vcc_lo, v222, v36
	v_add_co_ci_u32_e32 v37, vcc_lo, v223, v37, vcc_lo
	v_cmp_gt_u32_e32 vcc_lo, 0xf3, v24
	global_store_dwordx4 v[26:27], v[100:103], off
	global_store_dwordx4 v[30:31], v[96:99], off
	;; [unrolled: 1-line block ×4, first 2 shown]
	s_and_b32 exec_lo, exec_lo, vcc_lo
	s_cbranch_execz .LBB0_20
; %bb.19:
	v_subrev_nc_u32_e32 v25, 54, v220
	v_cndmask_b32_e64 v25, v25, v221, s0
	v_mul_i32_i24_e32 v186, 6, v25
	v_lshlrev_b64 v[25:26], 4, v[186:187]
	v_add_nc_u32_e32 v186, 0x1b0, v220
	v_add_co_u32 v25, vcc_lo, s8, v25
	v_add_co_ci_u32_e32 v26, vcc_lo, s9, v26, vcc_lo
	v_add_co_u32 v45, vcc_lo, 0xf00, v25
	v_add_co_ci_u32_e32 v46, vcc_lo, 0, v26, vcc_lo
	;; [unrolled: 2-line block ×4, first 2 shown]
	s_clause 0x5
	global_load_dwordx4 v[25:28], v[37:38], off offset:1792
	global_load_dwordx4 v[29:32], v[45:46], off offset:16
	;; [unrolled: 1-line block ×6, first 2 shown]
	s_waitcnt vmcnt(5)
	v_mul_f64 v[49:50], v[14:15], v[27:28]
	v_mul_f64 v[27:28], v[2:3], v[27:28]
	s_waitcnt vmcnt(4)
	v_mul_f64 v[51:52], v[16:17], v[31:32]
	v_mul_f64 v[31:32], v[4:5], v[31:32]
	;; [unrolled: 3-line block ×6, first 2 shown]
	v_fma_f64 v[2:3], v[2:3], v[25:26], -v[49:50]
	v_fma_f64 v[14:15], v[14:15], v[25:26], v[27:28]
	v_fma_f64 v[4:5], v[4:5], v[29:30], -v[51:52]
	v_fma_f64 v[16:17], v[16:17], v[29:30], v[31:32]
	;; [unrolled: 2-line block ×6, first 2 shown]
	v_add_f64 v[29:30], v[2:3], v[25:26]
	v_add_f64 v[31:32], v[14:15], v[27:28]
	;; [unrolled: 1-line block ×4, first 2 shown]
	v_add_f64 v[4:5], v[4:5], -v[10:11]
	v_add_f64 v[10:11], v[16:17], -v[22:23]
	v_add_f64 v[16:17], v[6:7], v[8:9]
	v_add_f64 v[22:23], v[18:19], v[20:21]
	v_add_f64 v[6:7], v[8:9], -v[6:7]
	v_add_f64 v[8:9], v[20:21], -v[18:19]
	;; [unrolled: 1-line block ×4, first 2 shown]
	v_add_f64 v[2:3], v[33:34], v[29:30]
	v_add_f64 v[20:21], v[35:36], v[31:32]
	v_add_f64 v[25:26], v[29:30], -v[16:17]
	v_add_f64 v[27:28], v[31:32], -v[22:23]
	;; [unrolled: 1-line block ×6, first 2 shown]
	v_add_f64 v[4:5], v[6:7], v[4:5]
	v_add_f64 v[10:11], v[8:9], v[10:11]
	v_add_f64 v[6:7], v[18:19], -v[6:7]
	v_add_f64 v[8:9], v[14:15], -v[8:9]
	v_add_f64 v[45:46], v[16:17], v[2:3]
	v_add_f64 v[20:21], v[22:23], v[20:21]
	v_add_f64 v[16:17], v[16:17], -v[33:34]
	v_add_f64 v[22:23], v[22:23], -v[35:36]
	v_mul_f64 v[47:48], v[25:26], s[16:17]
	v_mul_f64 v[26:27], v[27:28], s[16:17]
	;; [unrolled: 1-line block ×6, first 2 shown]
	v_add_f64 v[4:5], v[4:5], v[18:19]
	v_add_f64 v[10:11], v[10:11], v[14:15]
	v_mov_b32_e32 v25, v187
	v_lshlrev_b64 v[24:25], 4, v[24:25]
	v_add_f64 v[0:1], v[0:1], v[45:46]
	v_add_f64 v[2:3], v[12:13], v[20:21]
	v_add_f64 v[12:13], v[33:34], -v[29:30]
	v_add_f64 v[28:29], v[35:36], -v[31:32]
	v_mul_f64 v[30:31], v[16:17], s[10:11]
	v_mul_f64 v[32:33], v[22:23], s[10:11]
	v_fma_f64 v[14:15], v[16:17], s[10:11], v[47:48]
	v_fma_f64 v[16:17], v[22:23], s[10:11], v[26:27]
	;; [unrolled: 1-line block ×4, first 2 shown]
	v_fma_f64 v[34:35], v[41:42], s[24:25], -v[37:38]
	v_fma_f64 v[36:37], v[43:44], s[24:25], -v[39:40]
	;; [unrolled: 1-line block ×4, first 2 shown]
	v_fma_f64 v[38:39], v[45:46], s[4:5], v[0:1]
	v_fma_f64 v[20:21], v[20:21], s[4:5], v[2:3]
	v_fma_f64 v[40:41], v[12:13], s[22:23], -v[47:48]
	v_fma_f64 v[26:27], v[28:29], s[22:23], -v[26:27]
	;; [unrolled: 1-line block ×4, first 2 shown]
	v_lshlrev_b64 v[30:31], 4, v[186:187]
	v_add_nc_u32_e32 v186, 0x2a3, v220
	v_fma_f64 v[42:43], v[4:5], s[2:3], v[18:19]
	v_fma_f64 v[44:45], v[10:11], s[2:3], v[22:23]
	;; [unrolled: 1-line block ×6, first 2 shown]
	v_add_co_u32 v32, vcc_lo, v222, v24
	v_add_co_ci_u32_e32 v33, vcc_lo, v223, v25, vcc_lo
	v_lshlrev_b64 v[24:25], 4, v[186:187]
	v_add_nc_u32_e32 v186, 0x396, v220
	v_add_f64 v[46:47], v[14:15], v[38:39]
	v_add_f64 v[48:49], v[16:17], v[20:21]
	;; [unrolled: 1-line block ×6, first 2 shown]
	v_add_co_u32 v28, vcc_lo, v222, v30
	v_lshlrev_b64 v[4:5], 4, v[186:187]
	v_add_co_ci_u32_e32 v29, vcc_lo, v223, v31, vcc_lo
	v_add_co_u32 v30, vcc_lo, v222, v24
	v_add_co_ci_u32_e32 v31, vcc_lo, v223, v25, vcc_lo
	v_add_nc_u32_e32 v186, 0x489, v220
	v_add_co_u32 v50, vcc_lo, v222, v4
	v_add_co_ci_u32_e32 v51, vcc_lo, v223, v5, vcc_lo
	v_lshlrev_b64 v[38:39], 4, v[186:187]
	v_add_nc_u32_e32 v186, 0x57c, v220
	v_add_f64 v[4:5], v[44:45], v[46:47]
	v_add_f64 v[6:7], v[48:49], -v[42:43]
	v_add_f64 v[8:9], v[36:37], v[40:41]
	v_add_f64 v[10:11], v[26:27], -v[34:35]
	v_add_f64 v[12:13], v[16:17], -v[22:23]
	v_add_f64 v[14:15], v[18:19], v[20:21]
	v_add_f64 v[16:17], v[22:23], v[16:17]
	v_add_f64 v[18:19], v[20:21], -v[18:19]
	v_add_f64 v[20:21], v[40:41], -v[36:37]
	v_add_f64 v[22:23], v[34:35], v[26:27]
	v_add_f64 v[24:25], v[46:47], -v[44:45]
	v_add_f64 v[26:27], v[42:43], v[48:49]
	v_lshlrev_b64 v[34:35], 4, v[186:187]
	v_add_nc_u32_e32 v186, 0x66f, v220
	v_add_co_u32 v36, vcc_lo, v222, v38
	v_add_co_ci_u32_e32 v37, vcc_lo, v223, v39, vcc_lo
	v_lshlrev_b64 v[38:39], 4, v[186:187]
	v_add_co_u32 v34, vcc_lo, v222, v34
	v_add_co_ci_u32_e32 v35, vcc_lo, v223, v35, vcc_lo
	v_add_co_u32 v38, vcc_lo, v222, v38
	v_add_co_ci_u32_e32 v39, vcc_lo, v223, v39, vcc_lo
	global_store_dwordx4 v[32:33], v[0:3], off
	global_store_dwordx4 v[28:29], v[4:7], off
	global_store_dwordx4 v[30:31], v[8:11], off
	global_store_dwordx4 v[50:51], v[12:15], off
	global_store_dwordx4 v[36:37], v[16:19], off
	global_store_dwordx4 v[34:35], v[20:23], off
	global_store_dwordx4 v[38:39], v[24:27], off
.LBB0_20:
	s_endpgm
	.section	.rodata,"a",@progbits
	.p2align	6, 0x0
	.amdhsa_kernel fft_rtc_fwd_len1701_factors_3_3_3_3_3_7_wgs_63_tpt_63_halfLds_dp_op_CI_CI_unitstride_sbrr_dirReg
		.amdhsa_group_segment_fixed_size 0
		.amdhsa_private_segment_fixed_size 0
		.amdhsa_kernarg_size 104
		.amdhsa_user_sgpr_count 6
		.amdhsa_user_sgpr_private_segment_buffer 1
		.amdhsa_user_sgpr_dispatch_ptr 0
		.amdhsa_user_sgpr_queue_ptr 0
		.amdhsa_user_sgpr_kernarg_segment_ptr 1
		.amdhsa_user_sgpr_dispatch_id 0
		.amdhsa_user_sgpr_flat_scratch_init 0
		.amdhsa_user_sgpr_private_segment_size 0
		.amdhsa_wavefront_size32 1
		.amdhsa_uses_dynamic_stack 0
		.amdhsa_system_sgpr_private_segment_wavefront_offset 0
		.amdhsa_system_sgpr_workgroup_id_x 1
		.amdhsa_system_sgpr_workgroup_id_y 0
		.amdhsa_system_sgpr_workgroup_id_z 0
		.amdhsa_system_sgpr_workgroup_info 0
		.amdhsa_system_vgpr_workitem_id 0
		.amdhsa_next_free_vgpr 256
		.amdhsa_next_free_sgpr 27
		.amdhsa_reserve_vcc 1
		.amdhsa_reserve_flat_scratch 0
		.amdhsa_float_round_mode_32 0
		.amdhsa_float_round_mode_16_64 0
		.amdhsa_float_denorm_mode_32 3
		.amdhsa_float_denorm_mode_16_64 3
		.amdhsa_dx10_clamp 1
		.amdhsa_ieee_mode 1
		.amdhsa_fp16_overflow 0
		.amdhsa_workgroup_processor_mode 1
		.amdhsa_memory_ordered 1
		.amdhsa_forward_progress 0
		.amdhsa_shared_vgpr_count 0
		.amdhsa_exception_fp_ieee_invalid_op 0
		.amdhsa_exception_fp_denorm_src 0
		.amdhsa_exception_fp_ieee_div_zero 0
		.amdhsa_exception_fp_ieee_overflow 0
		.amdhsa_exception_fp_ieee_underflow 0
		.amdhsa_exception_fp_ieee_inexact 0
		.amdhsa_exception_int_div_zero 0
	.end_amdhsa_kernel
	.text
.Lfunc_end0:
	.size	fft_rtc_fwd_len1701_factors_3_3_3_3_3_7_wgs_63_tpt_63_halfLds_dp_op_CI_CI_unitstride_sbrr_dirReg, .Lfunc_end0-fft_rtc_fwd_len1701_factors_3_3_3_3_3_7_wgs_63_tpt_63_halfLds_dp_op_CI_CI_unitstride_sbrr_dirReg
                                        ; -- End function
	.section	.AMDGPU.csdata,"",@progbits
; Kernel info:
; codeLenInByte = 20792
; NumSgprs: 29
; NumVgprs: 256
; ScratchSize: 0
; MemoryBound: 1
; FloatMode: 240
; IeeeMode: 1
; LDSByteSize: 0 bytes/workgroup (compile time only)
; SGPRBlocks: 3
; VGPRBlocks: 31
; NumSGPRsForWavesPerEU: 29
; NumVGPRsForWavesPerEU: 256
; Occupancy: 4
; WaveLimiterHint : 1
; COMPUTE_PGM_RSRC2:SCRATCH_EN: 0
; COMPUTE_PGM_RSRC2:USER_SGPR: 6
; COMPUTE_PGM_RSRC2:TRAP_HANDLER: 0
; COMPUTE_PGM_RSRC2:TGID_X_EN: 1
; COMPUTE_PGM_RSRC2:TGID_Y_EN: 0
; COMPUTE_PGM_RSRC2:TGID_Z_EN: 0
; COMPUTE_PGM_RSRC2:TIDIG_COMP_CNT: 0
	.text
	.p2alignl 6, 3214868480
	.fill 48, 4, 3214868480
	.type	__hip_cuid_3409c777d896522e,@object ; @__hip_cuid_3409c777d896522e
	.section	.bss,"aw",@nobits
	.globl	__hip_cuid_3409c777d896522e
__hip_cuid_3409c777d896522e:
	.byte	0                               ; 0x0
	.size	__hip_cuid_3409c777d896522e, 1

	.ident	"AMD clang version 19.0.0git (https://github.com/RadeonOpenCompute/llvm-project roc-6.4.0 25133 c7fe45cf4b819c5991fe208aaa96edf142730f1d)"
	.section	".note.GNU-stack","",@progbits
	.addrsig
	.addrsig_sym __hip_cuid_3409c777d896522e
	.amdgpu_metadata
---
amdhsa.kernels:
  - .args:
      - .actual_access:  read_only
        .address_space:  global
        .offset:         0
        .size:           8
        .value_kind:     global_buffer
      - .offset:         8
        .size:           8
        .value_kind:     by_value
      - .actual_access:  read_only
        .address_space:  global
        .offset:         16
        .size:           8
        .value_kind:     global_buffer
      - .actual_access:  read_only
        .address_space:  global
        .offset:         24
        .size:           8
        .value_kind:     global_buffer
      - .actual_access:  read_only
        .address_space:  global
        .offset:         32
        .size:           8
        .value_kind:     global_buffer
      - .offset:         40
        .size:           8
        .value_kind:     by_value
      - .actual_access:  read_only
        .address_space:  global
        .offset:         48
        .size:           8
        .value_kind:     global_buffer
      - .actual_access:  read_only
        .address_space:  global
        .offset:         56
        .size:           8
        .value_kind:     global_buffer
      - .offset:         64
        .size:           4
        .value_kind:     by_value
      - .actual_access:  read_only
        .address_space:  global
        .offset:         72
        .size:           8
        .value_kind:     global_buffer
      - .actual_access:  read_only
        .address_space:  global
        .offset:         80
        .size:           8
        .value_kind:     global_buffer
      - .actual_access:  read_only
        .address_space:  global
        .offset:         88
        .size:           8
        .value_kind:     global_buffer
      - .actual_access:  write_only
        .address_space:  global
        .offset:         96
        .size:           8
        .value_kind:     global_buffer
    .group_segment_fixed_size: 0
    .kernarg_segment_align: 8
    .kernarg_segment_size: 104
    .language:       OpenCL C
    .language_version:
      - 2
      - 0
    .max_flat_workgroup_size: 63
    .name:           fft_rtc_fwd_len1701_factors_3_3_3_3_3_7_wgs_63_tpt_63_halfLds_dp_op_CI_CI_unitstride_sbrr_dirReg
    .private_segment_fixed_size: 0
    .sgpr_count:     29
    .sgpr_spill_count: 0
    .symbol:         fft_rtc_fwd_len1701_factors_3_3_3_3_3_7_wgs_63_tpt_63_halfLds_dp_op_CI_CI_unitstride_sbrr_dirReg.kd
    .uniform_work_group_size: 1
    .uses_dynamic_stack: false
    .vgpr_count:     256
    .vgpr_spill_count: 0
    .wavefront_size: 32
    .workgroup_processor_mode: 1
amdhsa.target:   amdgcn-amd-amdhsa--gfx1030
amdhsa.version:
  - 1
  - 2
...

	.end_amdgpu_metadata
